;; amdgpu-corpus repo=ROCm/rocFFT kind=compiled arch=gfx906 opt=O3
	.text
	.amdgcn_target "amdgcn-amd-amdhsa--gfx906"
	.amdhsa_code_object_version 6
	.protected	fft_rtc_back_len3645_factors_5_3_3_3_3_3_3_wgs_243_tpt_243_halfLds_sp_op_CI_CI_sbrr_dirReg ; -- Begin function fft_rtc_back_len3645_factors_5_3_3_3_3_3_3_wgs_243_tpt_243_halfLds_sp_op_CI_CI_sbrr_dirReg
	.globl	fft_rtc_back_len3645_factors_5_3_3_3_3_3_3_wgs_243_tpt_243_halfLds_sp_op_CI_CI_sbrr_dirReg
	.p2align	8
	.type	fft_rtc_back_len3645_factors_5_3_3_3_3_3_3_wgs_243_tpt_243_halfLds_sp_op_CI_CI_sbrr_dirReg,@function
fft_rtc_back_len3645_factors_5_3_3_3_3_3_3_wgs_243_tpt_243_halfLds_sp_op_CI_CI_sbrr_dirReg: ; @fft_rtc_back_len3645_factors_5_3_3_3_3_3_3_wgs_243_tpt_243_halfLds_sp_op_CI_CI_sbrr_dirReg
; %bb.0:
	s_load_dwordx4 s[16:19], s[4:5], 0x18
	s_load_dwordx4 s[12:15], s[4:5], 0x0
	;; [unrolled: 1-line block ×3, first 2 shown]
	v_mul_u32_u24_e32 v1, 0x10e, v0
	v_mov_b32_e32 v5, 0
	s_waitcnt lgkmcnt(0)
	s_load_dwordx2 s[20:21], s[16:17], 0x0
	s_load_dwordx2 s[2:3], s[18:19], 0x0
	v_cmp_lt_u64_e64 s[0:1], s[14:15], 2
	v_mov_b32_e32 v35, 0
	v_add_u32_sdwa v7, s6, v1 dst_sel:DWORD dst_unused:UNUSED_PAD src0_sel:DWORD src1_sel:WORD_1
	v_mov_b32_e32 v8, v5
	s_and_b64 vcc, exec, s[0:1]
	v_mov_b32_e32 v36, 0
	s_cbranch_vccnz .LBB0_8
; %bb.1:
	s_load_dwordx2 s[0:1], s[4:5], 0x10
	s_add_u32 s6, s18, 8
	s_addc_u32 s7, s19, 0
	s_add_u32 s22, s16, 8
	s_addc_u32 s23, s17, 0
	v_mov_b32_e32 v35, 0
	s_waitcnt lgkmcnt(0)
	s_add_u32 s24, s0, 8
	v_mov_b32_e32 v36, 0
	v_mov_b32_e32 v1, v35
	s_addc_u32 s25, s1, 0
	s_mov_b64 s[26:27], 1
	v_mov_b32_e32 v2, v36
.LBB0_2:                                ; =>This Inner Loop Header: Depth=1
	s_load_dwordx2 s[28:29], s[24:25], 0x0
                                        ; implicit-def: $vgpr3_vgpr4
	s_waitcnt lgkmcnt(0)
	v_or_b32_e32 v6, s29, v8
	v_cmp_ne_u64_e32 vcc, 0, v[5:6]
	s_and_saveexec_b64 s[0:1], vcc
	s_xor_b64 s[30:31], exec, s[0:1]
	s_cbranch_execz .LBB0_4
; %bb.3:                                ;   in Loop: Header=BB0_2 Depth=1
	v_cvt_f32_u32_e32 v3, s28
	v_cvt_f32_u32_e32 v4, s29
	s_sub_u32 s0, 0, s28
	s_subb_u32 s1, 0, s29
	v_mac_f32_e32 v3, 0x4f800000, v4
	v_rcp_f32_e32 v3, v3
	v_mul_f32_e32 v3, 0x5f7ffffc, v3
	v_mul_f32_e32 v4, 0x2f800000, v3
	v_trunc_f32_e32 v4, v4
	v_mac_f32_e32 v3, 0xcf800000, v4
	v_cvt_u32_f32_e32 v4, v4
	v_cvt_u32_f32_e32 v3, v3
	v_mul_lo_u32 v6, s0, v4
	v_mul_hi_u32 v9, s0, v3
	v_mul_lo_u32 v11, s1, v3
	v_mul_lo_u32 v10, s0, v3
	v_add_u32_e32 v6, v9, v6
	v_add_u32_e32 v6, v6, v11
	v_mul_hi_u32 v9, v3, v10
	v_mul_lo_u32 v11, v3, v6
	v_mul_hi_u32 v13, v3, v6
	v_mul_hi_u32 v12, v4, v10
	v_mul_lo_u32 v10, v4, v10
	v_mul_hi_u32 v14, v4, v6
	v_add_co_u32_e32 v9, vcc, v9, v11
	v_addc_co_u32_e32 v11, vcc, 0, v13, vcc
	v_mul_lo_u32 v6, v4, v6
	v_add_co_u32_e32 v9, vcc, v9, v10
	v_addc_co_u32_e32 v9, vcc, v11, v12, vcc
	v_addc_co_u32_e32 v10, vcc, 0, v14, vcc
	v_add_co_u32_e32 v6, vcc, v9, v6
	v_addc_co_u32_e32 v9, vcc, 0, v10, vcc
	v_add_co_u32_e32 v3, vcc, v3, v6
	v_addc_co_u32_e32 v4, vcc, v4, v9, vcc
	v_mul_lo_u32 v6, s0, v4
	v_mul_hi_u32 v9, s0, v3
	v_mul_lo_u32 v10, s1, v3
	v_mul_lo_u32 v11, s0, v3
	v_add_u32_e32 v6, v9, v6
	v_add_u32_e32 v6, v6, v10
	v_mul_lo_u32 v12, v3, v6
	v_mul_hi_u32 v13, v3, v11
	v_mul_hi_u32 v14, v3, v6
	;; [unrolled: 1-line block ×3, first 2 shown]
	v_mul_lo_u32 v11, v4, v11
	v_mul_hi_u32 v9, v4, v6
	v_add_co_u32_e32 v12, vcc, v13, v12
	v_addc_co_u32_e32 v13, vcc, 0, v14, vcc
	v_mul_lo_u32 v6, v4, v6
	v_add_co_u32_e32 v11, vcc, v12, v11
	v_addc_co_u32_e32 v10, vcc, v13, v10, vcc
	v_addc_co_u32_e32 v9, vcc, 0, v9, vcc
	v_add_co_u32_e32 v6, vcc, v10, v6
	v_addc_co_u32_e32 v9, vcc, 0, v9, vcc
	v_add_co_u32_e32 v6, vcc, v3, v6
	v_addc_co_u32_e32 v9, vcc, v4, v9, vcc
	v_mad_u64_u32 v[3:4], s[0:1], v7, v9, 0
	v_mul_hi_u32 v10, v7, v6
	v_add_co_u32_e32 v11, vcc, v10, v3
	v_addc_co_u32_e32 v12, vcc, 0, v4, vcc
	v_mad_u64_u32 v[3:4], s[0:1], v8, v6, 0
	v_mad_u64_u32 v[9:10], s[0:1], v8, v9, 0
	v_add_co_u32_e32 v3, vcc, v11, v3
	v_addc_co_u32_e32 v3, vcc, v12, v4, vcc
	v_addc_co_u32_e32 v4, vcc, 0, v10, vcc
	v_add_co_u32_e32 v6, vcc, v3, v9
	v_addc_co_u32_e32 v9, vcc, 0, v4, vcc
	v_mul_lo_u32 v10, s29, v6
	v_mul_lo_u32 v11, s28, v9
	v_mad_u64_u32 v[3:4], s[0:1], s28, v6, 0
	v_add3_u32 v4, v4, v11, v10
	v_sub_u32_e32 v10, v8, v4
	v_mov_b32_e32 v11, s29
	v_sub_co_u32_e32 v3, vcc, v7, v3
	v_subb_co_u32_e64 v10, s[0:1], v10, v11, vcc
	v_subrev_co_u32_e64 v11, s[0:1], s28, v3
	v_subbrev_co_u32_e64 v10, s[0:1], 0, v10, s[0:1]
	v_cmp_le_u32_e64 s[0:1], s29, v10
	v_cndmask_b32_e64 v12, 0, -1, s[0:1]
	v_cmp_le_u32_e64 s[0:1], s28, v11
	v_cndmask_b32_e64 v11, 0, -1, s[0:1]
	v_cmp_eq_u32_e64 s[0:1], s29, v10
	v_cndmask_b32_e64 v10, v12, v11, s[0:1]
	v_add_co_u32_e64 v11, s[0:1], 2, v6
	v_addc_co_u32_e64 v12, s[0:1], 0, v9, s[0:1]
	v_add_co_u32_e64 v13, s[0:1], 1, v6
	v_addc_co_u32_e64 v14, s[0:1], 0, v9, s[0:1]
	v_subb_co_u32_e32 v4, vcc, v8, v4, vcc
	v_cmp_ne_u32_e64 s[0:1], 0, v10
	v_cmp_le_u32_e32 vcc, s29, v4
	v_cndmask_b32_e64 v10, v14, v12, s[0:1]
	v_cndmask_b32_e64 v12, 0, -1, vcc
	v_cmp_le_u32_e32 vcc, s28, v3
	v_cndmask_b32_e64 v3, 0, -1, vcc
	v_cmp_eq_u32_e32 vcc, s29, v4
	v_cndmask_b32_e32 v3, v12, v3, vcc
	v_cmp_ne_u32_e32 vcc, 0, v3
	v_cndmask_b32_e64 v3, v13, v11, s[0:1]
	v_cndmask_b32_e32 v4, v9, v10, vcc
	v_cndmask_b32_e32 v3, v6, v3, vcc
.LBB0_4:                                ;   in Loop: Header=BB0_2 Depth=1
	s_andn2_saveexec_b64 s[0:1], s[30:31]
	s_cbranch_execz .LBB0_6
; %bb.5:                                ;   in Loop: Header=BB0_2 Depth=1
	v_cvt_f32_u32_e32 v3, s28
	s_sub_i32 s30, 0, s28
	v_rcp_iflag_f32_e32 v3, v3
	v_mul_f32_e32 v3, 0x4f7ffffe, v3
	v_cvt_u32_f32_e32 v3, v3
	v_mul_lo_u32 v4, s30, v3
	v_mul_hi_u32 v4, v3, v4
	v_add_u32_e32 v3, v3, v4
	v_mul_hi_u32 v3, v7, v3
	v_mul_lo_u32 v4, v3, s28
	v_add_u32_e32 v6, 1, v3
	v_sub_u32_e32 v4, v7, v4
	v_subrev_u32_e32 v9, s28, v4
	v_cmp_le_u32_e32 vcc, s28, v4
	v_cndmask_b32_e32 v4, v4, v9, vcc
	v_cndmask_b32_e32 v3, v3, v6, vcc
	v_add_u32_e32 v6, 1, v3
	v_cmp_le_u32_e32 vcc, s28, v4
	v_cndmask_b32_e32 v3, v3, v6, vcc
	v_mov_b32_e32 v4, v5
.LBB0_6:                                ;   in Loop: Header=BB0_2 Depth=1
	s_or_b64 exec, exec, s[0:1]
	v_mul_lo_u32 v6, v4, s28
	v_mul_lo_u32 v11, v3, s29
	v_mad_u64_u32 v[9:10], s[0:1], v3, s28, 0
	s_load_dwordx2 s[0:1], s[22:23], 0x0
	s_load_dwordx2 s[28:29], s[6:7], 0x0
	v_add3_u32 v6, v10, v11, v6
	v_sub_co_u32_e32 v7, vcc, v7, v9
	v_subb_co_u32_e32 v6, vcc, v8, v6, vcc
	s_waitcnt lgkmcnt(0)
	v_mul_lo_u32 v8, s0, v6
	v_mul_lo_u32 v9, s1, v7
	v_mad_u64_u32 v[35:36], s[0:1], s0, v7, v[35:36]
	v_mul_lo_u32 v6, s28, v6
	v_mul_lo_u32 v10, s29, v7
	v_mad_u64_u32 v[1:2], s[0:1], s28, v7, v[1:2]
	s_add_u32 s26, s26, 1
	s_addc_u32 s27, s27, 0
	s_add_u32 s6, s6, 8
	v_add3_u32 v2, v10, v2, v6
	s_addc_u32 s7, s7, 0
	v_mov_b32_e32 v6, s14
	s_add_u32 s22, s22, 8
	v_mov_b32_e32 v7, s15
	s_addc_u32 s23, s23, 0
	v_cmp_ge_u64_e32 vcc, s[26:27], v[6:7]
	s_add_u32 s24, s24, 8
	v_add3_u32 v36, v9, v36, v8
	s_addc_u32 s25, s25, 0
	s_cbranch_vccnz .LBB0_9
; %bb.7:                                ;   in Loop: Header=BB0_2 Depth=1
	v_mov_b32_e32 v8, v4
	v_mov_b32_e32 v7, v3
	s_branch .LBB0_2
.LBB0_8:
	v_mov_b32_e32 v1, v35
	v_mov_b32_e32 v3, v7
	;; [unrolled: 1-line block ×4, first 2 shown]
.LBB0_9:
	s_load_dwordx2 s[0:1], s[4:5], 0x28
	s_lshl_b64 s[14:15], s[14:15], 3
	s_add_u32 s4, s18, s14
	s_addc_u32 s5, s19, s15
                                        ; implicit-def: $vgpr37
                                        ; implicit-def: $vgpr38
                                        ; implicit-def: $vgpr40
                                        ; implicit-def: $vgpr39
                                        ; implicit-def: $vgpr41
	s_waitcnt lgkmcnt(0)
	v_cmp_gt_u64_e32 vcc, s[0:1], v[3:4]
	v_cmp_le_u64_e64 s[0:1], s[0:1], v[3:4]
	s_and_saveexec_b64 s[6:7], s[0:1]
	s_xor_b64 s[0:1], exec, s[6:7]
; %bb.10:
	s_mov_b32 s6, 0x10db20b
	v_mul_hi_u32 v5, v0, s6
                                        ; implicit-def: $vgpr35_vgpr36
	v_mul_u32_u24_e32 v5, 0xf3, v5
	v_sub_u32_e32 v37, v0, v5
	v_add_u32_e32 v38, 0xf3, v37
	v_add_u32_e32 v40, 0x1e6, v37
	;; [unrolled: 1-line block ×4, first 2 shown]
                                        ; implicit-def: $vgpr0
; %bb.11:
	s_or_saveexec_b64 s[6:7], s[0:1]
                                        ; implicit-def: $vgpr12
                                        ; implicit-def: $vgpr10
                                        ; implicit-def: $vgpr16
                                        ; implicit-def: $vgpr14
                                        ; implicit-def: $vgpr6
                                        ; implicit-def: $vgpr18
                                        ; implicit-def: $vgpr20
                                        ; implicit-def: $vgpr24
                                        ; implicit-def: $vgpr22
                                        ; implicit-def: $vgpr8
                                        ; implicit-def: $vgpr26
                                        ; implicit-def: $vgpr28
                                        ; implicit-def: $vgpr30
                                        ; implicit-def: $vgpr32
                                        ; implicit-def: $vgpr34
	s_xor_b64 exec, exec, s[6:7]
	s_cbranch_execz .LBB0_13
; %bb.12:
	s_add_u32 s0, s16, s14
	s_mov_b32 s14, 0x10db20b
	v_mul_hi_u32 v5, v0, s14
	s_addc_u32 s1, s17, s15
	s_load_dwordx2 s[0:1], s[0:1], 0x0
	v_mul_u32_u24_e32 v5, 0xf3, v5
	v_sub_u32_e32 v37, v0, v5
	v_mad_u64_u32 v[5:6], s[14:15], s20, v37, 0
	s_waitcnt lgkmcnt(0)
	v_mul_lo_u32 v11, s1, v3
	v_mul_lo_u32 v12, s0, v4
	v_mad_u64_u32 v[7:8], s[0:1], s0, v3, 0
	v_mov_b32_e32 v0, v6
	v_mad_u64_u32 v[9:10], s[0:1], s21, v37, v[0:1]
	v_add3_u32 v8, v8, v12, v11
	v_lshlrev_b64 v[7:8], 3, v[7:8]
	v_mov_b32_e32 v0, s9
	v_add_co_u32_e64 v11, s[0:1], s8, v7
	v_add_u32_e32 v39, 0x2d9, v37
	v_mov_b32_e32 v6, v9
	v_addc_co_u32_e64 v0, s[0:1], v0, v8, s[0:1]
	v_mad_u64_u32 v[9:10], s[0:1], s20, v39, 0
	v_lshlrev_b64 v[7:8], 3, v[35:36]
	v_lshlrev_b64 v[5:6], 3, v[5:6]
	v_add_co_u32_e64 v13, s[0:1], v11, v7
	v_addc_co_u32_e64 v14, s[0:1], v0, v8, s[0:1]
	v_mov_b32_e32 v0, v10
	v_mad_u64_u32 v[7:8], s[0:1], s21, v39, v[0:1]
	v_add_u32_e32 v8, 0x5b2, v37
	v_mad_u64_u32 v[11:12], s[0:1], s20, v8, 0
	v_add_co_u32_e64 v35, s[0:1], v13, v5
	v_mov_b32_e32 v10, v7
	v_mov_b32_e32 v0, v12
	v_addc_co_u32_e64 v36, s[0:1], v14, v6, s[0:1]
	v_lshlrev_b64 v[5:6], 3, v[9:10]
	v_mad_u64_u32 v[7:8], s[0:1], s21, v8, v[0:1]
	v_add_u32_e32 v10, 0x88b, v37
	v_mad_u64_u32 v[8:9], s[0:1], s20, v10, 0
	v_add_co_u32_e64 v42, s[0:1], v13, v5
	v_mov_b32_e32 v0, v9
	v_addc_co_u32_e64 v43, s[0:1], v14, v6, s[0:1]
	v_mov_b32_e32 v12, v7
	v_mad_u64_u32 v[9:10], s[0:1], s21, v10, v[0:1]
	v_add_u32_e32 v7, 0xb64, v37
	v_lshlrev_b64 v[5:6], 3, v[11:12]
	v_mad_u64_u32 v[10:11], s[0:1], s20, v7, 0
	v_add_co_u32_e64 v44, s[0:1], v13, v5
	v_mov_b32_e32 v0, v11
	v_addc_co_u32_e64 v45, s[0:1], v14, v6, s[0:1]
	v_lshlrev_b64 v[5:6], 3, v[8:9]
	v_mad_u64_u32 v[7:8], s[0:1], s21, v7, v[0:1]
	v_add_u32_e32 v38, 0xf3, v37
	v_mad_u64_u32 v[8:9], s[0:1], s20, v38, 0
	v_add_co_u32_e64 v46, s[0:1], v13, v5
	v_mov_b32_e32 v11, v7
	v_mov_b32_e32 v0, v9
	v_addc_co_u32_e64 v47, s[0:1], v14, v6, s[0:1]
	v_lshlrev_b64 v[5:6], 3, v[10:11]
	v_mad_u64_u32 v[9:10], s[0:1], s21, v38, v[0:1]
	v_add_u32_e32 v41, 0x3cc, v37
	v_mad_u64_u32 v[10:11], s[0:1], s20, v41, 0
	v_add_co_u32_e64 v48, s[0:1], v13, v5
	v_mov_b32_e32 v0, v11
	v_addc_co_u32_e64 v49, s[0:1], v14, v6, s[0:1]
	v_lshlrev_b64 v[5:6], 3, v[8:9]
	v_mad_u64_u32 v[7:8], s[0:1], s21, v41, v[0:1]
	v_add_u32_e32 v12, 0x6a5, v37
	v_mad_u64_u32 v[8:9], s[0:1], s20, v12, 0
	v_add_co_u32_e64 v50, s[0:1], v13, v5
	v_mov_b32_e32 v11, v7
	v_mov_b32_e32 v0, v9
	v_addc_co_u32_e64 v51, s[0:1], v14, v6, s[0:1]
	v_lshlrev_b64 v[5:6], 3, v[10:11]
	v_mad_u64_u32 v[9:10], s[0:1], s21, v12, v[0:1]
	v_add_u32_e32 v7, 0x97e, v37
	;; [unrolled: 15-line block ×5, first 2 shown]
	v_mad_u64_u32 v[10:11], s[0:1], s20, v7, 0
	v_add_co_u32_e64 v64, s[0:1], v13, v5
	v_mov_b32_e32 v0, v11
	v_addc_co_u32_e64 v65, s[0:1], v14, v6, s[0:1]
	v_lshlrev_b64 v[5:6], 3, v[8:9]
	v_mad_u64_u32 v[7:8], s[0:1], s21, v7, v[0:1]
	v_add_co_u32_e64 v66, s[0:1], v13, v5
	v_mov_b32_e32 v11, v7
	v_addc_co_u32_e64 v67, s[0:1], v14, v6, s[0:1]
	v_lshlrev_b64 v[5:6], 3, v[10:11]
	v_add_co_u32_e64 v68, s[0:1], v13, v5
	v_addc_co_u32_e64 v69, s[0:1], v14, v6, s[0:1]
	global_load_dwordx2 v[33:34], v[35:36], off
	global_load_dwordx2 v[31:32], v[42:43], off
	;; [unrolled: 1-line block ×15, first 2 shown]
.LBB0_13:
	s_or_b64 exec, exec, s[6:7]
	s_waitcnt vmcnt(11)
	v_add_f32_e32 v35, v27, v29
	v_fma_f32 v35, -0.5, v35, v33
	s_waitcnt vmcnt(10)
	v_sub_f32_e32 v36, v32, v26
	v_mov_b32_e32 v42, v35
	v_fmac_f32_e32 v42, 0xbf737871, v36
	v_sub_f32_e32 v43, v30, v28
	v_sub_f32_e32 v44, v31, v29
	;; [unrolled: 1-line block ×3, first 2 shown]
	v_fmac_f32_e32 v35, 0x3f737871, v36
	v_fmac_f32_e32 v42, 0xbf167918, v43
	v_add_f32_e32 v44, v45, v44
	v_fmac_f32_e32 v35, 0x3f167918, v43
	v_fmac_f32_e32 v42, 0x3e9e377a, v44
	;; [unrolled: 1-line block ×3, first 2 shown]
	v_add_f32_e32 v44, v25, v31
	v_add_f32_e32 v0, v31, v33
	v_fmac_f32_e32 v33, -0.5, v44
	v_mov_b32_e32 v44, v33
	v_fmac_f32_e32 v44, 0x3f737871, v43
	v_fmac_f32_e32 v33, 0xbf737871, v43
	v_fmac_f32_e32 v44, 0xbf167918, v36
	v_sub_f32_e32 v45, v29, v31
	v_sub_f32_e32 v46, v27, v25
	v_fmac_f32_e32 v33, 0x3f167918, v36
	s_waitcnt vmcnt(6)
	v_add_f32_e32 v36, v19, v23
	v_add_f32_e32 v45, v46, v45
	v_fma_f32 v36, -0.5, v36, v7
	v_fmac_f32_e32 v44, 0x3e9e377a, v45
	v_fmac_f32_e32 v33, 0x3e9e377a, v45
	s_waitcnt vmcnt(5)
	v_sub_f32_e32 v43, v22, v18
	v_mov_b32_e32 v45, v36
	v_sub_f32_e32 v46, v21, v23
	v_sub_f32_e32 v47, v17, v19
	v_fmac_f32_e32 v45, 0xbf737871, v43
	v_add_f32_e32 v46, v47, v46
	v_sub_f32_e32 v47, v24, v20
	v_fmac_f32_e32 v36, 0x3f737871, v43
	v_fmac_f32_e32 v45, 0xbf167918, v47
	;; [unrolled: 1-line block ×3, first 2 shown]
	v_add_f32_e32 v48, v17, v21
	v_fmac_f32_e32 v45, 0x3e9e377a, v46
	v_fmac_f32_e32 v36, 0x3e9e377a, v46
	v_add_f32_e32 v46, v21, v7
	v_fmac_f32_e32 v7, -0.5, v48
	v_sub_f32_e32 v48, v23, v21
	v_sub_f32_e32 v49, v19, v17
	v_add_f32_e32 v48, v49, v48
	v_mov_b32_e32 v49, v7
	v_fmac_f32_e32 v49, 0x3f737871, v47
	v_fmac_f32_e32 v7, 0xbf737871, v47
	v_add_f32_e32 v0, v29, v0
	v_fmac_f32_e32 v49, 0xbf167918, v43
	v_fmac_f32_e32 v7, 0x3f167918, v43
	v_add_f32_e32 v0, v27, v0
	v_add_f32_e32 v0, v25, v0
	v_fmac_f32_e32 v49, 0x3e9e377a, v48
	v_fmac_f32_e32 v7, 0x3e9e377a, v48
	v_mad_u32_u24 v48, v37, 20, 0
	ds_write2_b32 v48, v0, v42 offset1:1
	s_waitcnt vmcnt(3)
	v_add_f32_e32 v0, v13, v5
	s_waitcnt vmcnt(2)
	v_add_f32_e32 v0, v15, v0
	v_add_f32_e32 v43, v23, v46
	s_waitcnt vmcnt(1)
	v_add_f32_e32 v0, v9, v0
	;; [unrolled: 3-line block ×3, first 2 shown]
	v_add_f32_e32 v0, v9, v15
	v_add_f32_e32 v43, v17, v43
	v_fma_f32 v46, -0.5, v0, v5
	v_mad_i32_i24 v0, v38, 20, 0
	v_sub_f32_e32 v63, v31, v25
	v_add_f32_e32 v25, v11, v13
	ds_write2_b32 v48, v44, v33 offset0:2 offset1:3
	v_sub_f32_e32 v44, v14, v12
	ds_write_b32 v48, v35 offset:16
	ds_write2_b32 v0, v43, v45 offset1:1
	v_mov_b32_e32 v43, v46
	v_sub_f32_e32 v51, v29, v27
	v_fmac_f32_e32 v5, -0.5, v25
	v_sub_f32_e32 v25, v15, v13
	v_sub_f32_e32 v27, v9, v11
	;; [unrolled: 1-line block ×4, first 2 shown]
	v_fmac_f32_e32 v43, 0xbf737871, v44
	ds_write2_b32 v0, v49, v7 offset0:2 offset1:3
	v_sub_f32_e32 v7, v16, v10
	v_add_f32_e32 v49, v32, v34
	v_fmac_f32_e32 v46, 0x3f737871, v44
	v_add_f32_e32 v25, v27, v25
	v_mov_b32_e32 v27, v5
	v_add_f32_e32 v35, v35, v33
	v_fmac_f32_e32 v43, 0xbf167918, v7
	v_fmac_f32_e32 v46, 0x3f167918, v7
	;; [unrolled: 1-line block ×4, first 2 shown]
	v_add_f32_e32 v7, v30, v49
	v_fmac_f32_e32 v43, 0x3e9e377a, v35
	ds_write_b32 v0, v36 offset:16
	v_mad_i32_i24 v33, v40, 20, 0
	v_add_f32_e32 v36, v28, v30
	v_fmac_f32_e32 v27, 0xbf167918, v44
	v_fmac_f32_e32 v5, 0x3f167918, v44
	v_add_f32_e32 v7, v28, v7
	ds_write2_b32 v33, v42, v43 offset1:1
	v_fma_f32 v50, -0.5, v36, v34
	v_add_f32_e32 v36, v26, v32
	v_sub_f32_e32 v42, v28, v26
	v_fmac_f32_e32 v27, 0x3e9e377a, v25
	v_fmac_f32_e32 v5, 0x3e9e377a, v25
	v_sub_f32_e32 v28, v26, v28
	v_add_f32_e32 v7, v26, v7
	v_add_f32_e32 v26, v22, v8
	ds_write2_b32 v33, v27, v5 offset0:2 offset1:3
	v_lshlrev_b32_e32 v5, 4, v37
	v_add_f32_e32 v26, v24, v26
	v_fmac_f32_e32 v34, -0.5, v36
	v_sub_f32_e32 v36, v30, v32
	v_sub_u32_e32 v29, v48, v5
	v_sub_f32_e32 v5, v32, v30
	v_add_f32_e32 v30, v20, v24
	v_sub_f32_e32 v19, v23, v19
	v_sub_f32_e32 v23, v22, v24
	;; [unrolled: 1-line block ×4, first 2 shown]
	v_add_f32_e32 v21, v18, v22
	v_add_f32_e32 v22, v20, v26
	v_sub_f32_e32 v26, v18, v20
	v_sub_f32_e32 v20, v20, v18
	v_add_f32_e32 v18, v18, v22
	v_add_f32_e32 v22, v14, v6
	;; [unrolled: 1-line block ×4, first 2 shown]
	v_sub_f32_e32 v9, v15, v9
	v_sub_f32_e32 v15, v14, v16
	;; [unrolled: 1-line block ×4, first 2 shown]
	v_add_f32_e32 v13, v12, v14
	v_add_f32_e32 v14, v10, v22
	v_sub_f32_e32 v22, v12, v10
	v_sub_f32_e32 v10, v10, v12
	v_add_f32_e32 v12, v12, v14
	v_mov_b32_e32 v14, v50
	v_mov_b32_e32 v62, v34
	v_fmac_f32_e32 v14, 0x3f737871, v63
	v_fmac_f32_e32 v62, 0xbf737871, v51
	;; [unrolled: 1-line block ×3, first 2 shown]
	v_lshlrev_b32_e32 v43, 4, v40
	v_add_f32_e32 v5, v28, v5
	v_fmac_f32_e32 v14, 0x3f167918, v51
	v_add_f32_e32 v36, v42, v36
	v_fmac_f32_e32 v62, 0x3f167918, v63
	v_fmac_f32_e32 v34, 0xbf167918, v63
	;; [unrolled: 1-line block ×3, first 2 shown]
	v_lshlrev_b32_e32 v45, 4, v38
	v_sub_u32_e32 v47, v33, v43
	v_fmac_f32_e32 v14, 0x3e9e377a, v5
	v_fmac_f32_e32 v62, 0x3e9e377a, v36
	;; [unrolled: 1-line block ×3, first 2 shown]
	s_load_dwordx2 s[4:5], s[4:5], 0x0
	ds_write_b32 v33, v46 offset:16
	s_waitcnt lgkmcnt(0)
	s_barrier
	v_add_u32_e32 v25, 0x12e0, v29
	v_add_u32_e32 v36, 0x2200, v29
	v_sub_u32_e32 v46, v0, v45
	v_add_u32_e32 v27, 0x29c0, v29
	v_add_u32_e32 v42, 0x1a80, v29
	v_lshl_add_u32 v31, v39, 2, 0
	ds_read_b32 v64, v29
	ds_read_b32 v65, v31
	v_add_u32_e32 v44, 0x3140, v29
	v_lshl_add_u32 v35, v41, 2, 0
	ds_read_b32 v66, v47
	ds_read_b32 v67, v46
	;; [unrolled: 1-line block ×3, first 2 shown]
	ds_read2_b32 v[52:53], v25 offset0:7 offset1:250
	ds_read2_b32 v[54:55], v36 offset0:11 offset1:254
	;; [unrolled: 1-line block ×5, first 2 shown]
	s_waitcnt lgkmcnt(0)
	s_barrier
	ds_write2_b32 v48, v7, v14 offset1:1
	v_fma_f32 v7, -0.5, v30, v8
	v_fmac_f32_e32 v50, 0xbf737871, v63
	v_mov_b32_e32 v14, v7
	v_fmac_f32_e32 v50, 0xbf167918, v51
	v_fmac_f32_e32 v14, 0x3f737871, v17
	;; [unrolled: 1-line block ×3, first 2 shown]
	v_add_f32_e32 v5, v26, v23
	v_fmac_f32_e32 v14, 0x3f167918, v19
	v_fmac_f32_e32 v14, 0x3e9e377a, v5
	v_fmac_f32_e32 v8, -0.5, v21
	ds_write2_b32 v48, v62, v34 offset0:2 offset1:3
	ds_write_b32 v48, v50 offset:16
	ds_write2_b32 v0, v18, v14 offset1:1
	v_fmac_f32_e32 v7, 0xbf737871, v17
	v_mov_b32_e32 v14, v8
	v_fmac_f32_e32 v7, 0xbf167918, v19
	v_fmac_f32_e32 v14, 0xbf737871, v19
	;; [unrolled: 1-line block ×4, first 2 shown]
	v_add_f32_e32 v5, v20, v24
	v_fmac_f32_e32 v14, 0x3f167918, v17
	v_fmac_f32_e32 v8, 0xbf167918, v17
	;; [unrolled: 1-line block ×4, first 2 shown]
	v_add_f32_e32 v5, v22, v15
	v_fma_f32 v15, -0.5, v32, v6
	v_mov_b32_e32 v17, v15
	v_fmac_f32_e32 v17, 0x3f737871, v11
	v_fmac_f32_e32 v15, 0xbf737871, v11
	;; [unrolled: 1-line block ×4, first 2 shown]
	v_fmac_f32_e32 v6, -0.5, v13
	v_fmac_f32_e32 v17, 0x3e9e377a, v5
	v_fmac_f32_e32 v15, 0x3e9e377a, v5
	v_add_f32_e32 v5, v10, v16
	v_mov_b32_e32 v10, v6
	v_fmac_f32_e32 v10, 0xbf737871, v9
	v_fmac_f32_e32 v6, 0x3f737871, v9
	;; [unrolled: 1-line block ×4, first 2 shown]
	s_movk_i32 s0, 0xcd
	v_fmac_f32_e32 v10, 0x3e9e377a, v5
	v_fmac_f32_e32 v6, 0x3e9e377a, v5
	v_mul_lo_u16_sdwa v5, v37, s0 dst_sel:DWORD dst_unused:UNUSED_PAD src0_sel:BYTE_0 src1_sel:DWORD
	v_lshrrev_b16_e32 v24, 10, v5
	v_mul_lo_u16_e32 v5, 5, v24
	v_sub_u16_e32 v26, v37, v5
	v_mov_b32_e32 v5, 4
	ds_write2_b32 v0, v14, v8 offset0:2 offset1:3
	ds_write_b32 v0, v7 offset:16
	ds_write2_b32 v33, v12, v17 offset1:1
	ds_write2_b32 v33, v10, v6 offset0:2 offset1:3
	ds_write_b32 v33, v15 offset:16
	v_lshlrev_b32_sdwa v6, v5, v26 dst_sel:DWORD dst_unused:UNUSED_PAD src0_sel:DWORD src1_sel:BYTE_0
	s_waitcnt lgkmcnt(0)
	s_barrier
	global_load_dwordx4 v[6:9], v6, s[12:13]
	s_mov_b32 s0, 0xcccd
	v_mul_u32_u24_sdwa v10, v38, s0 dst_sel:DWORD dst_unused:UNUSED_PAD src0_sel:WORD_0 src1_sel:DWORD
	v_lshrrev_b32_e32 v28, 18, v10
	v_mul_lo_u16_e32 v10, 5, v28
	v_sub_u16_e32 v30, v38, v10
	v_lshlrev_b32_e32 v10, 4, v30
	global_load_dwordx4 v[10:13], v10, s[12:13]
	v_mul_u32_u24_sdwa v14, v40, s0 dst_sel:DWORD dst_unused:UNUSED_PAD src0_sel:WORD_0 src1_sel:DWORD
	v_lshrrev_b32_e32 v32, 18, v14
	v_mul_lo_u16_e32 v14, 5, v32
	v_sub_u16_e32 v34, v40, v14
	v_lshlrev_b32_e32 v14, 4, v34
	global_load_dwordx4 v[14:17], v14, s[12:13]
	v_mul_u32_u24_sdwa v18, v39, s0 dst_sel:DWORD dst_unused:UNUSED_PAD src0_sel:WORD_0 src1_sel:DWORD
	v_lshrrev_b32_e32 v69, 18, v18
	v_mul_lo_u16_e32 v18, 5, v69
	v_mul_u32_u24_sdwa v22, v41, s0 dst_sel:DWORD dst_unused:UNUSED_PAD src0_sel:WORD_0 src1_sel:DWORD
	v_sub_u16_e32 v70, v39, v18
	v_lshrrev_b32_e32 v71, 18, v22
	v_lshlrev_b32_e32 v18, 4, v70
	global_load_dwordx4 v[18:21], v18, s[12:13]
	v_mul_lo_u16_e32 v22, 5, v71
	v_sub_u16_e32 v72, v41, v22
	v_lshlrev_b32_e32 v22, 4, v72
	global_load_dwordx4 v[48:51], v22, s[12:13]
	ds_read2_b32 v[22:23], v25 offset0:7 offset1:250
	ds_read2_b32 v[62:63], v36 offset0:11 offset1:254
	v_mul_u32_u24_e32 v24, 60, v24
	s_movk_i32 s0, 0x89
	s_waitcnt vmcnt(4) lgkmcnt(1)
	v_mul_f32_e32 v73, v22, v7
	v_mul_f32_e32 v7, v52, v7
	v_fmac_f32_e32 v73, v52, v6
	v_fma_f32 v22, v22, v6, -v7
	s_waitcnt lgkmcnt(0)
	v_mul_f32_e32 v52, v63, v9
	v_mul_f32_e32 v6, v55, v9
	v_fmac_f32_e32 v52, v55, v8
	v_fma_f32 v55, v63, v8, -v6
	ds_read2_b32 v[6:7], v27 offset0:1 offset1:244
	s_waitcnt vmcnt(3)
	v_mul_f32_e32 v63, v23, v11
	v_mul_f32_e32 v8, v53, v11
	v_fmac_f32_e32 v63, v53, v10
	v_fma_f32 v10, v23, v10, -v8
	s_waitcnt lgkmcnt(0)
	v_mul_f32_e32 v11, v6, v13
	v_mul_f32_e32 v8, v56, v13
	v_fmac_f32_e32 v11, v56, v12
	v_fma_f32 v12, v6, v12, -v8
	ds_read2_b32 v[8:9], v42 offset0:5 offset1:248
	s_waitcnt vmcnt(2)
	v_mul_f32_e32 v13, v7, v17
	v_mul_f32_e32 v6, v57, v17
	v_fmac_f32_e32 v13, v57, v16
	v_fma_f32 v16, v7, v16, -v6
	v_mul_f32_e32 v6, v58, v15
	s_waitcnt lgkmcnt(0)
	v_mul_f32_e32 v17, v8, v15
	v_fma_f32 v8, v8, v14, -v6
	ds_read2_b32 v[6:7], v44 offset0:7 offset1:250
	v_fmac_f32_e32 v17, v58, v14
	s_waitcnt vmcnt(1)
	v_mul_f32_e32 v14, v9, v19
	v_mul_f32_e32 v15, v59, v19
	v_fmac_f32_e32 v14, v59, v18
	v_fma_f32 v9, v9, v18, -v15
	v_mul_f32_e32 v18, v60, v21
	s_waitcnt lgkmcnt(0)
	v_mul_f32_e32 v15, v6, v21
	v_fma_f32 v18, v6, v20, -v18
	s_waitcnt vmcnt(0)
	v_mul_f32_e32 v6, v54, v49
	v_fmac_f32_e32 v15, v60, v20
	v_fma_f32 v20, v62, v48, -v6
	v_mul_f32_e32 v6, v61, v51
	v_mul_f32_e32 v21, v7, v51
	v_fma_f32 v7, v7, v50, -v6
	v_add_f32_e32 v6, v73, v52
	v_add_f32_e32 v23, v64, v73
	v_fmac_f32_e32 v64, -0.5, v6
	v_mov_b32_e32 v6, 2
	v_mul_f32_e32 v19, v62, v49
	v_lshlrev_b32_sdwa v26, v6, v26 dst_sel:DWORD dst_unused:UNUSED_PAD src0_sel:DWORD src1_sel:BYTE_0
	v_fmac_f32_e32 v19, v54, v48
	v_add3_u32 v26, 0, v24, v26
	v_sub_f32_e32 v24, v22, v55
	v_mov_b32_e32 v48, v64
	v_add_f32_e32 v23, v23, v52
	v_fmac_f32_e32 v48, 0xbf5db3d7, v24
	v_fmac_f32_e32 v64, 0x3f5db3d7, v24
	v_add_f32_e32 v24, v63, v11
	v_fmac_f32_e32 v21, v61, v50
	ds_read_b32 v49, v29
	ds_read_b32 v50, v31
	;; [unrolled: 1-line block ×5, first 2 shown]
	s_waitcnt lgkmcnt(0)
	s_barrier
	ds_write2_b32 v26, v23, v48 offset1:5
	v_add_f32_e32 v23, v67, v63
	v_fmac_f32_e32 v67, -0.5, v24
	v_mul_u32_u24_e32 v24, 60, v28
	v_lshlrev_b32_e32 v28, 2, v30
	v_add3_u32 v28, 0, v24, v28
	v_sub_f32_e32 v24, v10, v12
	v_mov_b32_e32 v30, v67
	v_add_f32_e32 v23, v23, v11
	v_fmac_f32_e32 v30, 0xbf5db3d7, v24
	v_fmac_f32_e32 v67, 0x3f5db3d7, v24
	v_add_f32_e32 v24, v17, v13
	ds_write_b32 v26, v64 offset:40
	ds_write2_b32 v28, v23, v30 offset1:5
	v_add_f32_e32 v23, v66, v17
	v_fmac_f32_e32 v66, -0.5, v24
	v_mul_u32_u24_e32 v24, 60, v32
	v_lshlrev_b32_e32 v30, 2, v34
	v_add3_u32 v30, 0, v24, v30
	v_sub_f32_e32 v24, v8, v16
	v_mov_b32_e32 v32, v66
	v_add_f32_e32 v23, v23, v13
	v_fmac_f32_e32 v32, 0xbf5db3d7, v24
	v_fmac_f32_e32 v66, 0x3f5db3d7, v24
	v_add_f32_e32 v24, v14, v15
	ds_write_b32 v28, v67 offset:40
	;; [unrolled: 13-line block ×3, first 2 shown]
	ds_write2_b32 v32, v23, v34 offset1:5
	v_add_f32_e32 v23, v68, v19
	v_fmac_f32_e32 v68, -0.5, v24
	v_mul_u32_u24_e32 v24, 60, v71
	v_lshlrev_b32_e32 v34, 2, v72
	v_add3_u32 v34, 0, v24, v34
	v_sub_f32_e32 v24, v20, v7
	v_mov_b32_e32 v48, v68
	v_add_f32_e32 v23, v23, v21
	v_fmac_f32_e32 v48, 0xbf5db3d7, v24
	ds_write_b32 v32, v65 offset:40
	ds_write2_b32 v34, v23, v48 offset1:5
	v_add_f32_e32 v23, v49, v22
	v_add_f32_e32 v22, v22, v55
	v_fmac_f32_e32 v49, -0.5, v22
	v_sub_f32_e32 v22, v73, v52
	v_mov_b32_e32 v62, v49
	v_fmac_f32_e32 v62, 0x3f5db3d7, v22
	v_fmac_f32_e32 v49, 0xbf5db3d7, v22
	v_add_f32_e32 v22, v60, v10
	v_add_f32_e32 v10, v10, v12
	v_fmac_f32_e32 v60, -0.5, v10
	v_sub_f32_e32 v10, v63, v11
	v_mov_b32_e32 v11, v60
	v_fmac_f32_e32 v11, 0x3f5db3d7, v10
	v_fmac_f32_e32 v60, 0xbf5db3d7, v10
	v_add_f32_e32 v10, v51, v8
	v_add_f32_e32 v8, v8, v16
	;; [unrolled: 1-line block ×3, first 2 shown]
	v_fmac_f32_e32 v68, 0x3f5db3d7, v24
	v_add_f32_e32 v22, v22, v12
	v_fmac_f32_e32 v51, -0.5, v8
	ds_write_b32 v34, v68 offset:40
	s_waitcnt lgkmcnt(0)
	s_barrier
	ds_read_b32 v64, v29
	ds_read_b32 v65, v31
	;; [unrolled: 1-line block ×5, first 2 shown]
	ds_read2_b32 v[23:24], v25 offset0:7 offset1:250
	ds_read2_b32 v[52:53], v36 offset0:11 offset1:254
	;; [unrolled: 1-line block ×5, first 2 shown]
	s_waitcnt lgkmcnt(0)
	s_barrier
	ds_write2_b32 v26, v48, v62 offset1:5
	ds_write_b32 v26, v49 offset:40
	ds_write2_b32 v28, v22, v11 offset1:5
	v_sub_f32_e32 v8, v17, v13
	v_mov_b32_e32 v11, v51
	v_fmac_f32_e32 v11, 0x3f5db3d7, v8
	v_fmac_f32_e32 v51, 0xbf5db3d7, v8
	v_add_f32_e32 v8, v50, v9
	v_add_f32_e32 v9, v9, v18
	;; [unrolled: 1-line block ×3, first 2 shown]
	v_fmac_f32_e32 v50, -0.5, v9
	ds_write_b32 v28, v60 offset:40
	ds_write2_b32 v30, v10, v11 offset1:5
	v_sub_f32_e32 v9, v14, v15
	v_mov_b32_e32 v10, v50
	v_fmac_f32_e32 v10, 0x3f5db3d7, v9
	v_fmac_f32_e32 v50, 0xbf5db3d7, v9
	v_add_f32_e32 v9, v61, v20
	v_add_f32_e32 v9, v9, v7
	;; [unrolled: 1-line block ×3, first 2 shown]
	v_fmac_f32_e32 v61, -0.5, v7
	v_sub_f32_e32 v7, v19, v21
	v_mov_b32_e32 v11, v61
	v_fmac_f32_e32 v11, 0x3f5db3d7, v7
	v_fmac_f32_e32 v61, 0xbf5db3d7, v7
	v_mul_lo_u16_sdwa v7, v37, s0 dst_sel:DWORD dst_unused:UNUSED_PAD src0_sel:BYTE_0 src1_sel:DWORD
	v_lshrrev_b16_e32 v26, 11, v7
	v_mul_lo_u16_e32 v7, 15, v26
	v_sub_u16_e32 v28, v37, v7
	v_add_f32_e32 v8, v8, v18
	v_lshlrev_b32_sdwa v7, v5, v28 dst_sel:DWORD dst_unused:UNUSED_PAD src0_sel:DWORD src1_sel:BYTE_0
	ds_write_b32 v30, v51 offset:40
	ds_write2_b32 v32, v8, v10 offset1:5
	ds_write_b32 v32, v50 offset:40
	ds_write2_b32 v34, v9, v11 offset1:5
	ds_write_b32 v34, v61 offset:40
	s_waitcnt lgkmcnt(0)
	s_barrier
	global_load_dwordx4 v[7:10], v7, s[12:13] offset:80
	s_mov_b32 s0, 0x8889
	v_mul_u32_u24_sdwa v11, v38, s0 dst_sel:DWORD dst_unused:UNUSED_PAD src0_sel:WORD_0 src1_sel:DWORD
	v_lshrrev_b32_e32 v30, 19, v11
	v_mul_lo_u16_e32 v11, 15, v30
	v_sub_u16_e32 v32, v38, v11
	v_lshlrev_b32_e32 v11, 4, v32
	global_load_dwordx4 v[11:14], v11, s[12:13] offset:80
	v_mul_u32_u24_sdwa v15, v40, s0 dst_sel:DWORD dst_unused:UNUSED_PAD src0_sel:WORD_0 src1_sel:DWORD
	v_lshrrev_b32_e32 v34, 19, v15
	v_mul_lo_u16_e32 v15, 15, v34
	v_sub_u16_e32 v69, v40, v15
	v_lshlrev_b32_e32 v15, 4, v69
	global_load_dwordx4 v[15:18], v15, s[12:13] offset:80
	v_mul_u32_u24_sdwa v19, v39, s0 dst_sel:DWORD dst_unused:UNUSED_PAD src0_sel:WORD_0 src1_sel:DWORD
	v_lshrrev_b32_e32 v70, 19, v19
	v_mul_u32_u24_sdwa v48, v41, s0 dst_sel:DWORD dst_unused:UNUSED_PAD src0_sel:WORD_0 src1_sel:DWORD
	v_mul_lo_u16_e32 v19, 15, v70
	v_lshrrev_b32_e32 v72, 19, v48
	v_sub_u16_e32 v71, v39, v19
	v_mul_lo_u16_e32 v48, 15, v72
	v_lshlrev_b32_e32 v19, 4, v71
	global_load_dwordx4 v[19:22], v19, s[12:13] offset:80
	v_sub_u16_e32 v73, v41, v48
	v_lshlrev_b32_e32 v48, 4, v73
	global_load_dwordx4 v[48:51], v48, s[12:13] offset:80
	ds_read2_b32 v[60:61], v25 offset0:7 offset1:250
	ds_read2_b32 v[62:63], v36 offset0:11 offset1:254
	s_movk_i32 s0, 0x6d
	s_waitcnt vmcnt(4) lgkmcnt(1)
	v_mul_f32_e32 v74, v60, v8
	v_mul_f32_e32 v8, v23, v8
	v_fmac_f32_e32 v74, v23, v7
	v_fma_f32 v23, v60, v7, -v8
	s_waitcnt lgkmcnt(0)
	v_mul_f32_e32 v60, v63, v10
	v_mul_f32_e32 v7, v53, v10
	v_fmac_f32_e32 v60, v53, v9
	v_fma_f32 v53, v63, v9, -v7
	ds_read2_b32 v[7:8], v27 offset0:1 offset1:244
	s_waitcnt vmcnt(3)
	v_mul_f32_e32 v63, v61, v12
	v_mul_f32_e32 v9, v24, v12
	v_fmac_f32_e32 v63, v24, v11
	v_fma_f32 v11, v61, v11, -v9
	s_waitcnt lgkmcnt(0)
	v_mul_f32_e32 v12, v7, v14
	v_mul_f32_e32 v9, v54, v14
	v_fmac_f32_e32 v12, v54, v13
	v_fma_f32 v13, v7, v13, -v9
	ds_read2_b32 v[9:10], v42 offset0:5 offset1:248
	s_waitcnt vmcnt(2)
	v_mul_f32_e32 v14, v8, v18
	v_mul_f32_e32 v7, v55, v18
	v_fmac_f32_e32 v14, v55, v17
	v_fma_f32 v17, v8, v17, -v7
	v_mul_f32_e32 v7, v56, v16
	s_waitcnt lgkmcnt(0)
	v_mul_f32_e32 v18, v9, v16
	v_fma_f32 v9, v9, v15, -v7
	ds_read2_b32 v[7:8], v44 offset0:7 offset1:250
	v_fmac_f32_e32 v18, v56, v15
	s_waitcnt vmcnt(1)
	v_mul_f32_e32 v15, v10, v20
	v_mul_f32_e32 v16, v57, v20
	v_fmac_f32_e32 v15, v57, v19
	v_fma_f32 v10, v10, v19, -v16
	s_waitcnt lgkmcnt(0)
	v_mul_f32_e32 v16, v7, v22
	v_mul_f32_e32 v19, v58, v22
	s_waitcnt vmcnt(0)
	v_mul_f32_e32 v22, v59, v51
	v_add_f32_e32 v24, v74, v60
	v_fmac_f32_e32 v16, v58, v21
	v_fma_f32 v7, v7, v21, -v19
	v_mul_f32_e32 v21, v8, v51
	v_fma_f32 v8, v8, v50, -v22
	v_add_f32_e32 v22, v64, v74
	v_fmac_f32_e32 v64, -0.5, v24
	v_mul_u32_u24_e32 v24, 0xb4, v26
	v_lshlrev_b32_sdwa v26, v6, v28 dst_sel:DWORD dst_unused:UNUSED_PAD src0_sel:DWORD src1_sel:BYTE_0
	v_add3_u32 v26, 0, v24, v26
	v_sub_f32_e32 v24, v23, v53
	v_mov_b32_e32 v28, v64
	v_mul_f32_e32 v19, v62, v49
	v_mul_f32_e32 v20, v52, v49
	v_add_f32_e32 v22, v22, v60
	v_fmac_f32_e32 v28, 0xbf5db3d7, v24
	v_fmac_f32_e32 v64, 0x3f5db3d7, v24
	v_add_f32_e32 v24, v63, v12
	v_fmac_f32_e32 v19, v52, v48
	v_fma_f32 v20, v62, v48, -v20
	v_fmac_f32_e32 v21, v59, v50
	ds_read_b32 v48, v29
	ds_read_b32 v49, v31
	;; [unrolled: 1-line block ×5, first 2 shown]
	s_waitcnt lgkmcnt(0)
	s_barrier
	ds_write2_b32 v26, v22, v28 offset1:15
	v_add_f32_e32 v22, v67, v63
	v_fmac_f32_e32 v67, -0.5, v24
	v_mul_u32_u24_e32 v24, 0xb4, v30
	v_lshlrev_b32_e32 v28, 2, v32
	v_add3_u32 v28, 0, v24, v28
	v_sub_f32_e32 v24, v11, v13
	v_mov_b32_e32 v30, v67
	v_add_f32_e32 v22, v22, v12
	v_fmac_f32_e32 v30, 0xbf5db3d7, v24
	v_fmac_f32_e32 v67, 0x3f5db3d7, v24
	v_add_f32_e32 v24, v18, v14
	ds_write_b32 v26, v64 offset:120
	ds_write2_b32 v28, v22, v30 offset1:15
	v_add_f32_e32 v22, v66, v18
	v_fmac_f32_e32 v66, -0.5, v24
	v_mul_u32_u24_e32 v24, 0xb4, v34
	v_lshlrev_b32_e32 v30, 2, v69
	v_add3_u32 v30, 0, v24, v30
	v_sub_f32_e32 v24, v9, v17
	v_mov_b32_e32 v32, v66
	v_add_f32_e32 v22, v22, v14
	v_fmac_f32_e32 v32, 0xbf5db3d7, v24
	v_fmac_f32_e32 v66, 0x3f5db3d7, v24
	v_add_f32_e32 v24, v15, v16
	ds_write_b32 v28, v67 offset:120
	;; [unrolled: 13-line block ×3, first 2 shown]
	ds_write2_b32 v32, v22, v34 offset1:15
	v_add_f32_e32 v22, v68, v19
	v_fmac_f32_e32 v68, -0.5, v24
	v_mul_u32_u24_e32 v24, 0xb4, v72
	v_lshlrev_b32_e32 v34, 2, v73
	v_add3_u32 v34, 0, v24, v34
	v_sub_f32_e32 v24, v20, v8
	v_mov_b32_e32 v52, v68
	v_add_f32_e32 v22, v22, v21
	v_fmac_f32_e32 v52, 0xbf5db3d7, v24
	ds_write_b32 v32, v65 offset:120
	ds_write2_b32 v34, v22, v52 offset1:15
	v_add_f32_e32 v22, v48, v23
	v_add_f32_e32 v23, v23, v53
	v_fmac_f32_e32 v48, -0.5, v23
	v_sub_f32_e32 v60, v74, v60
	v_mov_b32_e32 v62, v48
	v_add_f32_e32 v22, v22, v53
	v_fmac_f32_e32 v68, 0x3f5db3d7, v24
	v_fmac_f32_e32 v62, 0x3f5db3d7, v60
	ds_write_b32 v34, v68 offset:120
	s_waitcnt lgkmcnt(0)
	s_barrier
	ds_read_b32 v64, v29
	ds_read_b32 v65, v31
	;; [unrolled: 1-line block ×5, first 2 shown]
	ds_read2_b32 v[23:24], v25 offset0:7 offset1:250
	ds_read2_b32 v[52:53], v36 offset0:11 offset1:254
	;; [unrolled: 1-line block ×5, first 2 shown]
	s_waitcnt lgkmcnt(0)
	s_barrier
	ds_write2_b32 v26, v22, v62 offset1:15
	v_add_f32_e32 v22, v51, v11
	v_add_f32_e32 v11, v11, v13
	v_fmac_f32_e32 v51, -0.5, v11
	v_sub_f32_e32 v11, v63, v12
	v_mov_b32_e32 v12, v51
	v_fmac_f32_e32 v12, 0x3f5db3d7, v11
	v_fmac_f32_e32 v51, 0xbf5db3d7, v11
	v_add_f32_e32 v11, v50, v9
	v_add_f32_e32 v9, v9, v17
	v_fmac_f32_e32 v48, 0xbf5db3d7, v60
	v_add_f32_e32 v22, v22, v13
	v_fmac_f32_e32 v50, -0.5, v9
	ds_write_b32 v26, v48 offset:120
	ds_write2_b32 v28, v22, v12 offset1:15
	v_sub_f32_e32 v9, v18, v14
	v_mov_b32_e32 v12, v50
	v_fmac_f32_e32 v12, 0x3f5db3d7, v9
	v_fmac_f32_e32 v50, 0xbf5db3d7, v9
	v_add_f32_e32 v9, v49, v10
	v_add_f32_e32 v9, v9, v7
	;; [unrolled: 1-line block ×3, first 2 shown]
	v_fmac_f32_e32 v49, -0.5, v7
	v_sub_f32_e32 v7, v15, v16
	v_mov_b32_e32 v10, v49
	v_fmac_f32_e32 v10, 0x3f5db3d7, v7
	v_fmac_f32_e32 v49, 0xbf5db3d7, v7
	v_add_f32_e32 v7, v61, v20
	v_add_f32_e32 v7, v7, v8
	;; [unrolled: 1-line block ×4, first 2 shown]
	v_fmac_f32_e32 v61, -0.5, v8
	ds_write_b32 v28, v51 offset:120
	ds_write2_b32 v30, v11, v12 offset1:15
	v_sub_f32_e32 v8, v19, v21
	v_mov_b32_e32 v11, v61
	ds_write_b32 v30, v50 offset:120
	v_fmac_f32_e32 v11, 0x3f5db3d7, v8
	v_fmac_f32_e32 v61, 0xbf5db3d7, v8
	ds_write2_b32 v32, v9, v10 offset1:15
	ds_write_b32 v32, v49 offset:120
	ds_write2_b32 v34, v7, v11 offset1:15
	ds_write_b32 v34, v61 offset:120
	v_mul_lo_u16_sdwa v7, v37, s0 dst_sel:DWORD dst_unused:UNUSED_PAD src0_sel:BYTE_0 src1_sel:DWORD
	v_sub_u16_sdwa v8, v37, v7 dst_sel:DWORD dst_unused:UNUSED_PAD src0_sel:DWORD src1_sel:BYTE_1
	v_lshrrev_b16_e32 v8, 1, v8
	v_and_b32_e32 v8, 0x7f, v8
	v_add_u16_sdwa v7, v8, v7 dst_sel:DWORD dst_unused:UNUSED_PAD src0_sel:DWORD src1_sel:BYTE_1
	s_movk_i32 s0, 0x2d83
	v_lshrrev_b16_e32 v26, 5, v7
	v_mul_u32_u24_sdwa v15, v40, s0 dst_sel:DWORD dst_unused:UNUSED_PAD src0_sel:WORD_0 src1_sel:DWORD
	v_mul_lo_u16_e32 v7, 45, v26
	v_lshrrev_b32_e32 v32, 19, v15
	v_sub_u16_e32 v28, v37, v7
	v_mul_lo_u16_e32 v15, 45, v32
	v_lshlrev_b32_sdwa v5, v5, v28 dst_sel:DWORD dst_unused:UNUSED_PAD src0_sel:DWORD src1_sel:BYTE_0
	v_sub_u16_e32 v34, v40, v15
	s_waitcnt lgkmcnt(0)
	s_barrier
	global_load_dwordx4 v[7:10], v5, s[12:13] offset:320
	v_lshlrev_b32_e32 v15, 4, v34
	global_load_dwordx4 v[15:18], v15, s[12:13] offset:320
	v_mul_u32_u24_sdwa v5, v38, s0 dst_sel:DWORD dst_unused:UNUSED_PAD src0_sel:WORD_0 src1_sel:DWORD
	v_lshrrev_b32_e32 v5, 19, v5
	v_mul_lo_u16_e32 v11, 45, v5
	v_sub_u16_e32 v30, v38, v11
	v_lshlrev_b32_e32 v11, 4, v30
	global_load_dwordx4 v[11:14], v11, s[12:13] offset:320
	v_mul_u32_u24_sdwa v19, v39, s0 dst_sel:DWORD dst_unused:UNUSED_PAD src0_sel:WORD_0 src1_sel:DWORD
	v_lshrrev_b32_e32 v69, 19, v19
	v_mul_u32_u24_sdwa v48, v41, s0 dst_sel:DWORD dst_unused:UNUSED_PAD src0_sel:WORD_0 src1_sel:DWORD
	v_mul_lo_u16_e32 v19, 45, v69
	v_lshrrev_b32_e32 v71, 19, v48
	v_sub_u16_e32 v70, v39, v19
	v_mul_lo_u16_e32 v48, 45, v71
	v_lshlrev_b32_e32 v19, 4, v70
	global_load_dwordx4 v[19:22], v19, s[12:13] offset:320
	v_sub_u16_e32 v72, v41, v48
	v_lshlrev_b32_e32 v48, 4, v72
	global_load_dwordx4 v[48:51], v48, s[12:13] offset:320
	ds_read2_b32 v[60:61], v25 offset0:7 offset1:250
	ds_read2_b32 v[62:63], v36 offset0:11 offset1:254
	v_lshlrev_b32_sdwa v6, v6, v28 dst_sel:DWORD dst_unused:UNUSED_PAD src0_sel:DWORD src1_sel:BYTE_0
	v_mul_u32_u24_e32 v5, 0x21c, v5
	s_movk_i32 s0, 0x87
	v_cmp_gt_u32_e64 s[0:1], s0, v37
	s_waitcnt vmcnt(4) lgkmcnt(1)
	v_mul_f32_e32 v73, v60, v8
	v_mul_f32_e32 v8, v23, v8
	v_fmac_f32_e32 v73, v23, v7
	v_fma_f32 v23, v60, v7, -v8
	s_waitcnt lgkmcnt(0)
	v_mul_f32_e32 v60, v63, v10
	v_mul_f32_e32 v7, v53, v10
	v_fmac_f32_e32 v60, v53, v9
	v_fma_f32 v53, v63, v9, -v7
	ds_read2_b32 v[7:8], v27 offset0:1 offset1:244
	s_waitcnt vmcnt(2)
	v_mul_f32_e32 v63, v61, v12
	v_mul_f32_e32 v9, v24, v12
	v_fmac_f32_e32 v63, v24, v11
	v_fma_f32 v11, v61, v11, -v9
	s_waitcnt lgkmcnt(0)
	v_mul_f32_e32 v12, v7, v14
	v_mul_f32_e32 v9, v54, v14
	v_fmac_f32_e32 v12, v54, v13
	v_fma_f32 v13, v7, v13, -v9
	ds_read2_b32 v[9:10], v42 offset0:5 offset1:248
	v_mul_f32_e32 v14, v8, v18
	v_mul_f32_e32 v7, v55, v18
	v_fmac_f32_e32 v14, v55, v17
	v_fma_f32 v17, v8, v17, -v7
	v_mul_f32_e32 v7, v56, v16
	s_waitcnt lgkmcnt(0)
	v_mul_f32_e32 v18, v9, v16
	v_fma_f32 v9, v9, v15, -v7
	ds_read2_b32 v[7:8], v44 offset0:7 offset1:250
	v_fmac_f32_e32 v18, v56, v15
	s_waitcnt vmcnt(1)
	v_mul_f32_e32 v15, v10, v20
	v_mul_f32_e32 v16, v57, v20
	v_fmac_f32_e32 v15, v57, v19
	v_fma_f32 v10, v10, v19, -v16
	s_waitcnt lgkmcnt(0)
	v_mul_f32_e32 v16, v7, v22
	v_mul_f32_e32 v19, v58, v22
	s_waitcnt vmcnt(0)
	v_mul_f32_e32 v22, v59, v51
	v_add_f32_e32 v24, v73, v60
	v_fmac_f32_e32 v16, v58, v21
	v_fma_f32 v7, v7, v21, -v19
	v_mul_f32_e32 v21, v8, v51
	v_fma_f32 v8, v8, v50, -v22
	v_add_f32_e32 v22, v64, v73
	v_fmac_f32_e32 v64, -0.5, v24
	v_mul_u32_u24_e32 v24, 0x21c, v26
	v_add3_u32 v6, 0, v24, v6
	v_sub_f32_e32 v24, v23, v53
	v_mov_b32_e32 v26, v64
	v_mul_f32_e32 v19, v62, v49
	v_mul_f32_e32 v20, v52, v49
	v_add_f32_e32 v22, v22, v60
	v_fmac_f32_e32 v26, 0xbf5db3d7, v24
	v_fmac_f32_e32 v64, 0x3f5db3d7, v24
	v_add_f32_e32 v24, v63, v12
	v_fmac_f32_e32 v19, v52, v48
	v_fma_f32 v20, v62, v48, -v20
	v_fmac_f32_e32 v21, v59, v50
	ds_read_b32 v28, v29
	ds_read_b32 v48, v31
	ds_read_b32 v49, v47
	ds_read_b32 v50, v46
	ds_read_b32 v51, v35
	s_waitcnt lgkmcnt(0)
	s_barrier
	ds_write2_b32 v6, v22, v26 offset1:45
	v_add_f32_e32 v22, v67, v63
	v_fmac_f32_e32 v67, -0.5, v24
	v_lshlrev_b32_e32 v24, 2, v30
	v_add3_u32 v5, 0, v5, v24
	v_sub_f32_e32 v24, v11, v13
	v_mov_b32_e32 v26, v67
	v_add_f32_e32 v22, v22, v12
	v_fmac_f32_e32 v26, 0xbf5db3d7, v24
	v_fmac_f32_e32 v67, 0x3f5db3d7, v24
	v_add_f32_e32 v24, v18, v14
	ds_write_b32 v6, v64 offset:360
	ds_write2_b32 v5, v22, v26 offset1:45
	v_add_f32_e32 v22, v66, v18
	v_fmac_f32_e32 v66, -0.5, v24
	v_mul_u32_u24_e32 v24, 0x21c, v32
	v_lshlrev_b32_e32 v26, 2, v34
	v_add3_u32 v26, 0, v24, v26
	v_sub_f32_e32 v24, v9, v17
	v_mov_b32_e32 v30, v66
	v_add_f32_e32 v22, v22, v14
	v_fmac_f32_e32 v30, 0xbf5db3d7, v24
	v_fmac_f32_e32 v66, 0x3f5db3d7, v24
	v_add_f32_e32 v24, v15, v16
	ds_write_b32 v5, v67 offset:360
	ds_write2_b32 v26, v22, v30 offset1:45
	v_add_f32_e32 v22, v65, v15
	v_fmac_f32_e32 v65, -0.5, v24
	v_mul_u32_u24_e32 v24, 0x21c, v69
	;; [unrolled: 13-line block ×3, first 2 shown]
	v_lshlrev_b32_e32 v32, 2, v72
	v_add3_u32 v32, 0, v24, v32
	v_sub_f32_e32 v24, v20, v8
	v_mov_b32_e32 v34, v68
	v_add_f32_e32 v22, v22, v21
	v_fmac_f32_e32 v34, 0xbf5db3d7, v24
	ds_write_b32 v30, v65 offset:360
	ds_write2_b32 v32, v22, v34 offset1:45
	v_add_f32_e32 v22, v28, v23
	v_add_f32_e32 v23, v23, v53
	v_fmac_f32_e32 v28, -0.5, v23
	v_sub_f32_e32 v34, v73, v60
	v_mov_b32_e32 v60, v28
	v_add_f32_e32 v22, v22, v53
	v_fmac_f32_e32 v68, 0x3f5db3d7, v24
	v_fmac_f32_e32 v60, 0x3f5db3d7, v34
	;; [unrolled: 1-line block ×3, first 2 shown]
	ds_write_b32 v32, v68 offset:360
	s_waitcnt lgkmcnt(0)
	s_barrier
	ds_read_b32 v64, v29
	ds_read_b32 v65, v31
	;; [unrolled: 1-line block ×5, first 2 shown]
	ds_read2_b32 v[23:24], v25 offset0:7 offset1:250
	ds_read2_b32 v[52:53], v36 offset0:11 offset1:254
	;; [unrolled: 1-line block ×5, first 2 shown]
	s_waitcnt lgkmcnt(0)
	s_barrier
	ds_write2_b32 v6, v22, v60 offset1:45
	ds_write_b32 v6, v28 offset:360
	v_add_f32_e32 v6, v50, v11
	v_add_f32_e32 v11, v11, v13
	v_fmac_f32_e32 v50, -0.5, v11
	v_sub_f32_e32 v11, v63, v12
	v_mov_b32_e32 v12, v50
	v_add_f32_e32 v6, v6, v13
	v_fmac_f32_e32 v12, 0x3f5db3d7, v11
	ds_write2_b32 v5, v6, v12 offset1:45
	v_fmac_f32_e32 v50, 0xbf5db3d7, v11
	v_add_f32_e32 v6, v9, v17
	ds_write_b32 v5, v50 offset:360
	v_add_f32_e32 v5, v49, v9
	v_fmac_f32_e32 v49, -0.5, v6
	v_sub_f32_e32 v6, v18, v14
	v_mov_b32_e32 v9, v49
	v_add_f32_e32 v5, v5, v17
	v_fmac_f32_e32 v9, 0x3f5db3d7, v6
	v_fmac_f32_e32 v49, 0xbf5db3d7, v6
	v_add_f32_e32 v6, v10, v7
	ds_write2_b32 v26, v5, v9 offset1:45
	v_add_f32_e32 v5, v48, v10
	v_fmac_f32_e32 v48, -0.5, v6
	v_add_f32_e32 v5, v5, v7
	v_sub_f32_e32 v6, v15, v16
	v_mov_b32_e32 v7, v48
	v_fmac_f32_e32 v7, 0x3f5db3d7, v6
	v_fmac_f32_e32 v48, 0xbf5db3d7, v6
	v_add_f32_e32 v6, v51, v20
	v_add_f32_e32 v6, v6, v8
	;; [unrolled: 1-line block ×3, first 2 shown]
	v_fmac_f32_e32 v51, -0.5, v8
	v_sub_f32_e32 v8, v19, v21
	v_mov_b32_e32 v9, v51
	v_fmac_f32_e32 v9, 0x3f5db3d7, v8
	v_fmac_f32_e32 v51, 0xbf5db3d7, v8
	ds_write_b32 v26, v49 offset:360
	ds_write2_b32 v30, v5, v7 offset1:45
	ds_write_b32 v30, v48 offset:360
	ds_write2_b32 v32, v6, v9 offset1:45
	ds_write_b32 v32, v51 offset:360
	v_add_u32_e32 v5, 0xffffff79, v37
	v_cndmask_b32_e64 v26, v5, v37, s[0:1]
	v_lshlrev_b32_e32 v5, 1, v26
	v_mov_b32_e32 v6, 0
	v_lshlrev_b64 v[7:8], 3, v[5:6]
	v_mov_b32_e32 v28, s13
	v_add_co_u32_e64 v7, s[0:1], s12, v7
	v_addc_co_u32_e64 v8, s[0:1], v28, v8, s[0:1]
	s_waitcnt lgkmcnt(0)
	s_barrier
	global_load_dwordx4 v[7:10], v[7:8], off offset:1040
	s_movk_i32 s0, 0x795d
	v_mul_u32_u24_sdwa v5, v38, s0 dst_sel:DWORD dst_unused:UNUSED_PAD src0_sel:WORD_0 src1_sel:DWORD
	v_lshrrev_b32_e32 v5, 22, v5
	v_mul_lo_u16_e32 v11, 0x87, v5
	v_sub_u16_e32 v30, v38, v11
	v_lshlrev_b32_e32 v11, 4, v30
	global_load_dwordx4 v[11:14], v11, s[12:13] offset:1040
	v_mul_u32_u24_sdwa v15, v40, s0 dst_sel:DWORD dst_unused:UNUSED_PAD src0_sel:WORD_0 src1_sel:DWORD
	v_lshrrev_b32_e32 v32, 22, v15
	v_mul_lo_u16_e32 v15, 0x87, v32
	v_sub_u16_e32 v34, v40, v15
	v_lshlrev_b32_e32 v15, 4, v34
	global_load_dwordx4 v[15:18], v15, s[12:13] offset:1040
	v_mul_u32_u24_sdwa v19, v39, s0 dst_sel:DWORD dst_unused:UNUSED_PAD src0_sel:WORD_0 src1_sel:DWORD
	v_lshrrev_b32_e32 v69, 22, v19
	v_mul_u32_u24_sdwa v48, v41, s0 dst_sel:DWORD dst_unused:UNUSED_PAD src0_sel:WORD_0 src1_sel:DWORD
	v_mul_lo_u16_e32 v19, 0x87, v69
	v_lshrrev_b32_e32 v71, 22, v48
	v_sub_u16_e32 v70, v39, v19
	v_mul_lo_u16_e32 v48, 0x87, v71
	v_lshlrev_b32_e32 v19, 4, v70
	v_sub_u16_e32 v72, v41, v48
	global_load_dwordx4 v[19:22], v19, s[12:13] offset:1040
	v_lshlrev_b32_e32 v48, 4, v72
	global_load_dwordx4 v[48:51], v48, s[12:13] offset:1040
	ds_read2_b32 v[60:61], v25 offset0:7 offset1:250
	ds_read2_b32 v[62:63], v36 offset0:11 offset1:254
	s_movk_i32 s0, 0x86
	v_cmp_lt_u32_e64 s[0:1], s0, v37
	v_lshlrev_b32_e32 v26, 2, v26
	v_mul_u32_u24_e32 v5, 0x654, v5
	s_waitcnt vmcnt(4) lgkmcnt(1)
	v_mul_f32_e32 v73, v60, v8
	v_mul_f32_e32 v8, v23, v8
	v_fmac_f32_e32 v73, v23, v7
	v_fma_f32 v23, v60, v7, -v8
	s_waitcnt lgkmcnt(0)
	v_mul_f32_e32 v60, v63, v10
	v_mul_f32_e32 v7, v53, v10
	v_fmac_f32_e32 v60, v53, v9
	v_fma_f32 v53, v63, v9, -v7
	ds_read2_b32 v[7:8], v27 offset0:1 offset1:244
	s_waitcnt vmcnt(3)
	v_mul_f32_e32 v63, v61, v12
	v_mul_f32_e32 v9, v24, v12
	v_fmac_f32_e32 v63, v24, v11
	v_fma_f32 v11, v61, v11, -v9
	s_waitcnt lgkmcnt(0)
	v_mul_f32_e32 v12, v7, v14
	v_mul_f32_e32 v9, v54, v14
	v_fmac_f32_e32 v12, v54, v13
	v_fma_f32 v13, v7, v13, -v9
	ds_read2_b32 v[9:10], v42 offset0:5 offset1:248
	s_waitcnt vmcnt(2)
	v_mul_f32_e32 v14, v8, v18
	v_mul_f32_e32 v7, v55, v18
	v_fmac_f32_e32 v14, v55, v17
	v_fma_f32 v17, v8, v17, -v7
	v_mul_f32_e32 v7, v56, v16
	s_waitcnt lgkmcnt(0)
	v_mul_f32_e32 v18, v9, v16
	v_fma_f32 v9, v9, v15, -v7
	ds_read2_b32 v[7:8], v44 offset0:7 offset1:250
	v_fmac_f32_e32 v18, v56, v15
	s_waitcnt vmcnt(1)
	v_mul_f32_e32 v15, v10, v20
	v_mul_f32_e32 v16, v57, v20
	v_fmac_f32_e32 v15, v57, v19
	v_fma_f32 v10, v10, v19, -v16
	s_waitcnt lgkmcnt(0)
	v_mul_f32_e32 v16, v7, v22
	v_mul_f32_e32 v19, v58, v22
	s_waitcnt vmcnt(0)
	v_mul_f32_e32 v22, v59, v51
	v_add_f32_e32 v24, v73, v60
	v_fmac_f32_e32 v16, v58, v21
	v_fma_f32 v7, v7, v21, -v19
	v_mul_f32_e32 v21, v8, v51
	v_fma_f32 v8, v8, v50, -v22
	v_add_f32_e32 v22, v64, v73
	v_fmac_f32_e32 v64, -0.5, v24
	v_mov_b32_e32 v24, 0x654
	v_mul_f32_e32 v19, v62, v49
	v_mul_f32_e32 v20, v52, v49
	v_cndmask_b32_e64 v24, 0, v24, s[0:1]
	v_fmac_f32_e32 v19, v52, v48
	v_fma_f32 v20, v62, v48, -v20
	v_add3_u32 v24, 0, v24, v26
	v_sub_f32_e32 v26, v23, v53
	v_mov_b32_e32 v48, v64
	v_add_f32_e32 v22, v22, v60
	v_fmac_f32_e32 v48, 0xbf5db3d7, v26
	v_fmac_f32_e32 v64, 0x3f5db3d7, v26
	v_add_f32_e32 v26, v63, v12
	v_fmac_f32_e32 v21, v59, v50
	ds_read_b32 v49, v29
	ds_read_b32 v50, v31
	;; [unrolled: 1-line block ×5, first 2 shown]
	s_waitcnt lgkmcnt(0)
	s_barrier
	ds_write2_b32 v24, v22, v48 offset1:135
	v_add_f32_e32 v22, v67, v63
	v_fmac_f32_e32 v67, -0.5, v26
	v_lshlrev_b32_e32 v26, 2, v30
	v_add3_u32 v5, 0, v5, v26
	v_sub_f32_e32 v26, v11, v13
	v_mov_b32_e32 v30, v67
	v_add_f32_e32 v22, v22, v12
	v_fmac_f32_e32 v30, 0xbf5db3d7, v26
	v_fmac_f32_e32 v67, 0x3f5db3d7, v26
	v_add_f32_e32 v26, v18, v14
	ds_write_b32 v24, v64 offset:1080
	ds_write2_b32 v5, v22, v30 offset1:135
	v_add_f32_e32 v22, v66, v18
	v_fmac_f32_e32 v66, -0.5, v26
	v_mul_u32_u24_e32 v26, 0x654, v32
	v_lshlrev_b32_e32 v30, 2, v34
	v_add3_u32 v26, 0, v26, v30
	v_sub_f32_e32 v30, v9, v17
	v_mov_b32_e32 v32, v66
	v_add_f32_e32 v22, v22, v14
	v_fmac_f32_e32 v32, 0xbf5db3d7, v30
	v_fmac_f32_e32 v66, 0x3f5db3d7, v30
	v_add_f32_e32 v30, v15, v16
	ds_write_b32 v5, v67 offset:1080
	ds_write2_b32 v26, v22, v32 offset1:135
	v_add_f32_e32 v22, v65, v15
	v_fmac_f32_e32 v65, -0.5, v30
	v_mul_u32_u24_e32 v30, 0x654, v69
	;; [unrolled: 13-line block ×3, first 2 shown]
	v_lshlrev_b32_e32 v34, 2, v72
	v_add3_u32 v32, 0, v32, v34
	v_sub_f32_e32 v34, v20, v8
	v_mov_b32_e32 v48, v68
	v_add_f32_e32 v22, v22, v21
	v_fmac_f32_e32 v48, 0xbf5db3d7, v34
	ds_write_b32 v30, v65 offset:1080
	ds_write2_b32 v32, v22, v48 offset1:135
	v_add_f32_e32 v22, v49, v23
	v_add_f32_e32 v23, v23, v53
	v_fmac_f32_e32 v49, -0.5, v23
	v_sub_f32_e32 v23, v73, v60
	v_fmac_f32_e32 v68, 0x3f5db3d7, v34
	v_mov_b32_e32 v34, v49
	v_add_f32_e32 v22, v22, v53
	v_fmac_f32_e32 v34, 0x3f5db3d7, v23
	ds_write_b32 v32, v68 offset:1080
	s_waitcnt lgkmcnt(0)
	s_barrier
	ds_read_b32 v66, v29
	ds_read_b32 v67, v31
	;; [unrolled: 1-line block ×5, first 2 shown]
	ds_read2_b32 v[52:53], v25 offset0:7 offset1:250
	ds_read2_b32 v[54:55], v36 offset0:11 offset1:254
	;; [unrolled: 1-line block ×5, first 2 shown]
	s_waitcnt lgkmcnt(0)
	s_barrier
	ds_write2_b32 v24, v22, v34 offset1:135
	v_add_f32_e32 v22, v62, v11
	v_add_f32_e32 v11, v11, v13
	v_fmac_f32_e32 v62, -0.5, v11
	v_sub_f32_e32 v11, v63, v12
	v_mov_b32_e32 v12, v62
	v_fmac_f32_e32 v49, 0xbf5db3d7, v23
	v_add_f32_e32 v22, v22, v13
	v_fmac_f32_e32 v12, 0x3f5db3d7, v11
	v_fmac_f32_e32 v62, 0xbf5db3d7, v11
	ds_write_b32 v24, v49 offset:1080
	ds_write2_b32 v5, v22, v12 offset1:135
	ds_write_b32 v5, v62 offset:1080
	v_add_f32_e32 v5, v51, v9
	v_add_f32_e32 v9, v9, v17
	v_fmac_f32_e32 v51, -0.5, v9
	v_sub_f32_e32 v9, v18, v14
	v_mov_b32_e32 v11, v51
	v_add_f32_e32 v5, v5, v17
	v_fmac_f32_e32 v11, 0x3f5db3d7, v9
	ds_write2_b32 v26, v5, v11 offset1:135
	v_add_f32_e32 v5, v50, v10
	v_add_f32_e32 v5, v5, v7
	v_add_f32_e32 v7, v10, v7
	v_fmac_f32_e32 v50, -0.5, v7
	v_fmac_f32_e32 v51, 0xbf5db3d7, v9
	v_sub_f32_e32 v7, v15, v16
	v_mov_b32_e32 v9, v50
	v_fmac_f32_e32 v9, 0x3f5db3d7, v7
	v_fmac_f32_e32 v50, 0xbf5db3d7, v7
	v_add_f32_e32 v7, v20, v8
	ds_write_b32 v26, v51 offset:1080
	ds_write2_b32 v30, v5, v9 offset1:135
	v_add_f32_e32 v5, v74, v20
	v_fmac_f32_e32 v74, -0.5, v7
	v_add_f32_e32 v5, v5, v8
	v_sub_f32_e32 v7, v19, v21
	v_mov_b32_e32 v8, v74
	v_fmac_f32_e32 v8, 0x3f5db3d7, v7
	v_fmac_f32_e32 v74, 0xbf5db3d7, v7
	ds_write_b32 v30, v50 offset:1080
	ds_write2_b32 v32, v5, v8 offset1:135
	ds_write_b32 v32, v74 offset:1080
	v_lshlrev_b32_e32 v5, 1, v37
	v_lshlrev_b64 v[7:8], 3, v[5:6]
	v_add_u32_e32 v13, 0xffffff5e, v37
	v_add_co_u32_e64 v7, s[0:1], s12, v7
	v_addc_co_u32_e64 v8, s[0:1], v28, v8, s[0:1]
	s_movk_i32 s0, 0xa2
	v_cmp_gt_u32_e64 s[0:1], s0, v37
	s_waitcnt lgkmcnt(0)
	s_barrier
	global_load_dwordx4 v[9:12], v[7:8], off offset:3200
	v_cndmask_b32_e64 v26, v13, v38, s[0:1]
	v_lshlrev_b32_e32 v13, 1, v26
	v_mov_b32_e32 v14, v6
	v_lshlrev_b64 v[13:14], 3, v[13:14]
	v_add_u32_e32 v5, 0xa2, v5
	v_add_co_u32_e64 v13, s[0:1], s12, v13
	v_addc_co_u32_e64 v14, s[0:1], v28, v14, s[0:1]
	global_load_dwordx4 v[13:16], v[13:14], off offset:3200
	v_lshlrev_b64 v[17:18], 3, v[5:6]
	v_add_co_u32_e64 v17, s[0:1], s12, v17
	v_addc_co_u32_e64 v18, s[0:1], v28, v18, s[0:1]
	s_movk_i32 s0, 0x43a3
	v_mul_u32_u24_sdwa v5, v39, s0 dst_sel:DWORD dst_unused:UNUSED_PAD src0_sel:WORD_0 src1_sel:DWORD
	global_load_dwordx4 v[17:20], v[17:18], off offset:3200
	v_sub_u16_sdwa v21, v39, v5 dst_sel:DWORD dst_unused:UNUSED_PAD src0_sel:DWORD src1_sel:WORD_1
	v_lshrrev_b16_e32 v21, 1, v21
	v_mul_u32_u24_sdwa v30, v41, s0 dst_sel:DWORD dst_unused:UNUSED_PAD src0_sel:WORD_0 src1_sel:DWORD
	v_add_u16_sdwa v5, v21, v5 dst_sel:DWORD dst_unused:UNUSED_PAD src0_sel:DWORD src1_sel:WORD_1
	s_movk_i32 s1, 0x195
	v_sub_u16_sdwa v32, v41, v30 dst_sel:DWORD dst_unused:UNUSED_PAD src0_sel:DWORD src1_sel:WORD_1
	v_mul_lo_u16_sdwa v21, v5, s1 dst_sel:DWORD dst_unused:UNUSED_PAD src0_sel:BYTE_1 src1_sel:DWORD
	v_lshrrev_b16_e32 v32, 1, v32
	v_sub_u16_e32 v28, v39, v21
	v_add_u16_sdwa v30, v32, v30 dst_sel:DWORD dst_unused:UNUSED_PAD src0_sel:DWORD src1_sel:WORD_1
	v_lshlrev_b32_e32 v21, 4, v28
	v_mul_lo_u16_sdwa v30, v30, s1 dst_sel:DWORD dst_unused:UNUSED_PAD src0_sel:BYTE_1 src1_sel:DWORD
	global_load_dwordx4 v[21:24], v21, s[12:13] offset:3200
	v_sub_u16_e32 v30, v41, v30
	v_lshlrev_b32_e32 v32, 4, v30
	global_load_dwordx4 v[48:51], v32, s[12:13] offset:3200
	ds_read2_b32 v[62:63], v25 offset0:7 offset1:250
	ds_read2_b32 v[64:65], v36 offset0:11 offset1:254
	s_movk_i32 s0, 0xa1
	v_cmp_lt_u32_e64 s[0:1], s0, v37
	s_waitcnt vmcnt(4) lgkmcnt(1)
	v_mul_f32_e32 v32, v62, v10
	v_mul_f32_e32 v10, v52, v10
	v_fmac_f32_e32 v32, v52, v9
	v_fma_f32 v34, v62, v9, -v10
	s_waitcnt lgkmcnt(0)
	v_mul_f32_e32 v52, v65, v12
	v_mul_f32_e32 v9, v55, v12
	v_fmac_f32_e32 v52, v55, v11
	v_fma_f32 v55, v65, v11, -v9
	ds_read2_b32 v[9:10], v27 offset0:1 offset1:244
	s_waitcnt vmcnt(3)
	v_mul_f32_e32 v62, v63, v14
	v_mul_f32_e32 v11, v53, v14
	v_fmac_f32_e32 v62, v53, v13
	v_fma_f32 v13, v63, v13, -v11
	s_waitcnt lgkmcnt(0)
	v_mul_f32_e32 v14, v9, v16
	v_mul_f32_e32 v11, v56, v16
	v_fmac_f32_e32 v14, v56, v15
	v_fma_f32 v15, v9, v15, -v11
	ds_read2_b32 v[11:12], v42 offset0:5 offset1:248
	s_waitcnt vmcnt(2)
	;; [unrolled: 11-line block ×3, first 2 shown]
	v_mul_f32_e32 v63, v12, v22
	v_mul_f32_e32 v11, v59, v22
	v_fmac_f32_e32 v63, v59, v21
	v_fma_f32 v59, v12, v21, -v11
	s_waitcnt lgkmcnt(0)
	v_mul_f32_e32 v65, v9, v24
	v_mul_f32_e32 v11, v60, v24
	v_fmac_f32_e32 v65, v60, v23
	v_fma_f32 v24, v9, v23, -v11
	s_waitcnt vmcnt(0)
	v_mul_f32_e32 v60, v64, v49
	v_mul_f32_e32 v9, v54, v49
	v_fmac_f32_e32 v60, v54, v48
	v_fma_f32 v48, v64, v48, -v9
	v_mul_f32_e32 v49, v10, v51
	v_mul_f32_e32 v9, v61, v51
	ds_read_b32 v51, v29
	v_fmac_f32_e32 v49, v61, v50
	v_fma_f32 v50, v10, v50, -v9
	v_add_f32_e32 v10, v32, v52
	v_add_f32_e32 v9, v66, v32
	v_fmac_f32_e32 v66, -0.5, v10
	v_sub_f32_e32 v10, v34, v55
	v_mov_b32_e32 v11, v66
	v_fmac_f32_e32 v11, 0xbf5db3d7, v10
	v_fmac_f32_e32 v66, 0x3f5db3d7, v10
	s_waitcnt lgkmcnt(0)
	v_add_f32_e32 v10, v51, v34
	ds_read_b32 v54, v31
	ds_read_b32 v61, v35
	v_add_f32_e32 v64, v10, v55
	v_add_f32_e32 v10, v34, v55
	ds_read_b32 v34, v46
	v_fmac_f32_e32 v51, -0.5, v10
	v_sub_f32_e32 v10, v32, v52
	v_mov_b32_e32 v32, v51
	v_add_f32_e32 v12, v62, v14
	v_fmac_f32_e32 v32, 0x3f5db3d7, v10
	v_fmac_f32_e32 v51, 0xbf5db3d7, v10
	v_add_f32_e32 v10, v69, v62
	v_fmac_f32_e32 v69, -0.5, v12
	v_sub_f32_e32 v12, v13, v15
	v_mov_b32_e32 v16, v69
	v_add_f32_e32 v9, v9, v52
	ds_read_b32 v52, v47
	v_fmac_f32_e32 v16, 0xbf5db3d7, v12
	v_fmac_f32_e32 v69, 0x3f5db3d7, v12
	s_waitcnt lgkmcnt(1)
	v_add_f32_e32 v12, v34, v13
	v_add_f32_e32 v55, v12, v15
	;; [unrolled: 1-line block ×3, first 2 shown]
	v_fmac_f32_e32 v34, -0.5, v12
	v_sub_f32_e32 v12, v62, v14
	v_mov_b32_e32 v62, v34
	v_add_f32_e32 v13, v57, v53
	v_fmac_f32_e32 v62, 0x3f5db3d7, v12
	v_fmac_f32_e32 v34, 0xbf5db3d7, v12
	v_add_f32_e32 v12, v68, v57
	v_fmac_f32_e32 v68, -0.5, v13
	v_add_f32_e32 v10, v10, v14
	v_sub_f32_e32 v13, v58, v56
	v_mov_b32_e32 v14, v68
	v_add_f32_e32 v15, v63, v65
	s_waitcnt lgkmcnt(0)
	s_barrier
	ds_write_b32 v29, v9
	ds_write_b32 v29, v11 offset:1620
	ds_write_b32 v29, v66 offset:3240
	v_mov_b32_e32 v9, 0x12fc
	v_fmac_f32_e32 v14, 0xbf5db3d7, v13
	v_fmac_f32_e32 v68, 0x3f5db3d7, v13
	v_add_f32_e32 v13, v67, v63
	v_fmac_f32_e32 v67, -0.5, v15
	v_cndmask_b32_e64 v9, 0, v9, s[0:1]
	v_lshlrev_b32_e32 v11, 2, v26
	v_sub_f32_e32 v15, v59, v24
	v_mov_b32_e32 v17, v67
	v_add_f32_e32 v18, v60, v49
	v_add3_u32 v26, 0, v9, v11
	v_add_f32_e32 v9, v12, v53
	v_lshl_add_u32 v66, v37, 2, 0
	s_movk_i32 s0, 0x12fc
	v_fmac_f32_e32 v17, 0xbf5db3d7, v15
	v_fmac_f32_e32 v67, 0x3f5db3d7, v15
	v_add_f32_e32 v15, v70, v60
	v_fmac_f32_e32 v70, -0.5, v18
	ds_write_b32 v26, v10
	ds_write_b32 v26, v16 offset:1620
	ds_write_b32 v26, v69 offset:3240
	;; [unrolled: 1-line block ×5, first 2 shown]
	v_mul_u32_u24_sdwa v5, v5, s0 dst_sel:DWORD dst_unused:UNUSED_PAD src0_sel:BYTE_1 src1_sel:DWORD
	v_lshlrev_b32_e32 v9, 2, v28
	v_sub_f32_e32 v18, v48, v50
	v_mov_b32_e32 v19, v70
	v_add3_u32 v5, 0, v5, v9
	v_add_f32_e32 v9, v13, v65
	v_fmac_f32_e32 v19, 0xbf5db3d7, v18
	ds_write_b32 v5, v9
	ds_write_b32 v5, v17 offset:1620
	ds_write_b32 v5, v67 offset:3240
	v_add_f32_e32 v9, v15, v49
	v_lshl_add_u32 v28, v30, 2, 0
	v_fmac_f32_e32 v70, 0x3f5db3d7, v18
	ds_write_b32 v28, v9 offset:9720
	ds_write_b32 v28, v19 offset:11340
	;; [unrolled: 1-line block ×3, first 2 shown]
	s_waitcnt lgkmcnt(0)
	s_barrier
	ds_read_b32 v21, v47
	ds_read_b32 v19, v29
	;; [unrolled: 1-line block ×5, first 2 shown]
	ds_read2_b32 v[11:12], v25 offset0:7 offset1:250
	ds_read2_b32 v[9:10], v36 offset0:11 offset1:254
	;; [unrolled: 1-line block ×5, first 2 shown]
	v_add_f32_e32 v30, v58, v56
	s_waitcnt lgkmcnt(0)
	s_barrier
	ds_write_b32 v29, v64
	ds_write_b32 v29, v32 offset:1620
	ds_write_b32 v29, v51 offset:3240
	ds_write_b32 v26, v55
	ds_write_b32 v26, v62 offset:1620
	ds_write_b32 v26, v34 offset:3240
	v_add_f32_e32 v26, v52, v58
	v_fmac_f32_e32 v52, -0.5, v30
	v_add_f32_e32 v26, v26, v56
	v_sub_f32_e32 v30, v57, v53
	v_mov_b32_e32 v32, v52
	v_fmac_f32_e32 v32, 0x3f5db3d7, v30
	v_fmac_f32_e32 v52, 0xbf5db3d7, v30
	ds_write_b32 v66, v26 offset:5184
	ds_write_b32 v66, v32 offset:6804
	;; [unrolled: 1-line block ×3, first 2 shown]
	v_add_f32_e32 v26, v54, v59
	v_add_f32_e32 v26, v26, v24
	;; [unrolled: 1-line block ×3, first 2 shown]
	v_fmac_f32_e32 v54, -0.5, v24
	v_sub_f32_e32 v24, v63, v65
	v_mov_b32_e32 v30, v54
	v_add_f32_e32 v32, v48, v50
	v_fmac_f32_e32 v30, 0x3f5db3d7, v24
	v_fmac_f32_e32 v54, 0xbf5db3d7, v24
	v_add_f32_e32 v24, v61, v48
	v_fmac_f32_e32 v61, -0.5, v32
	v_sub_f32_e32 v32, v60, v49
	v_mov_b32_e32 v34, v61
	v_add_f32_e32 v24, v24, v50
	v_fmac_f32_e32 v34, 0x3f5db3d7, v32
	v_fmac_f32_e32 v61, 0xbf5db3d7, v32
	ds_write_b32 v5, v26
	ds_write_b32 v5, v30 offset:1620
	ds_write_b32 v5, v54 offset:3240
	;; [unrolled: 1-line block ×5, first 2 shown]
	s_waitcnt lgkmcnt(0)
	s_barrier
	s_and_saveexec_b64 s[0:1], vcc
	s_cbranch_execz .LBB0_15
; %bb.14:
	v_lshlrev_b32_e32 v5, 1, v41
	v_lshlrev_b64 v[46:47], 3, v[5:6]
	v_mov_b32_e32 v24, s13
	v_add_co_u32_e32 v5, vcc, s12, v46
	v_addc_co_u32_e32 v26, vcc, v24, v47, vcc
	s_movk_i32 s6, 0x2000
	v_add_co_u32_e32 v46, vcc, s6, v5
	v_lshlrev_b32_e32 v5, 1, v39
	v_addc_co_u32_e32 v47, vcc, 0, v26, vcc
	v_lshlrev_b64 v[50:51], 3, v[5:6]
	global_load_dwordx4 v[46:49], v[46:47], off offset:1488
	v_add_co_u32_e32 v5, vcc, s12, v50
	v_addc_co_u32_e32 v26, vcc, v24, v51, vcc
	v_add_co_u32_e32 v50, vcc, s6, v5
	v_addc_co_u32_e32 v51, vcc, 0, v26, vcc
	global_load_dwordx4 v[50:53], v[50:51], off offset:1488
	v_lshlrev_b32_e32 v5, 1, v40
	v_lshlrev_b64 v[39:40], 3, v[5:6]
	v_mul_lo_u32 v28, s5, v3
	v_add_co_u32_e32 v5, vcc, s12, v39
	v_addc_co_u32_e32 v26, vcc, v24, v40, vcc
	v_add_co_u32_e32 v39, vcc, s6, v5
	v_addc_co_u32_e32 v40, vcc, 0, v26, vcc
	global_load_dwordx4 v[54:57], v[39:40], off offset:1488
	v_mul_lo_u32 v4, s4, v4
	v_mad_u64_u32 v[58:59], s[0:1], s4, v3, 0
	v_lshlrev_b32_e32 v5, 1, v38
	v_add_co_u32_e32 v7, vcc, s6, v7
	v_add3_u32 v59, v59, v4, v28
	v_lshlrev_b64 v[3:4], 3, v[5:6]
	v_addc_co_u32_e32 v8, vcc, 0, v8, vcc
	v_add_co_u32_e32 v3, vcc, s12, v3
	v_addc_co_u32_e32 v4, vcc, v24, v4, vcc
	v_add_co_u32_e32 v64, vcc, s6, v3
	v_addc_co_u32_e32 v65, vcc, 0, v4, vcc
	v_sub_u32_e32 v26, 0, v43
	ds_read2_b32 v[60:61], v36 offset0:11 offset1:254
	ds_read2_b32 v[43:44], v44 offset0:7 offset1:250
	;; [unrolled: 1-line block ×3, first 2 shown]
	global_load_dwordx4 v[3:6], v[64:65], off offset:1488
	global_load_dwordx4 v[38:41], v[7:8], off offset:1488
	v_sub_u32_e32 v45, 0, v45
	v_add_u32_e32 v0, v0, v45
	s_mov_b32 s0, 0x1af83441
	s_movk_i32 s6, 0xe3d
	ds_read_b32 v36, v31
	s_waitcnt vmcnt(4)
	v_mul_f32_e32 v8, v18, v49
	s_waitcnt lgkmcnt(2)
	v_fma_f32 v34, v48, v44, -v8
	ds_read_b32 v8, v35
	v_mul_f32_e32 v7, v9, v47
	v_mul_f32_e32 v24, v60, v47
	;; [unrolled: 1-line block ×3, first 2 shown]
	v_fma_f32 v7, v46, v60, -v7
	v_fmac_f32_e32 v24, v9, v46
	v_fmac_f32_e32 v28, v18, v48
	s_waitcnt vmcnt(3)
	v_mul_f32_e32 v30, v16, v51
	v_mul_f32_e32 v32, v17, v53
	s_waitcnt lgkmcnt(2)
	v_fma_f32 v9, v50, v63, -v30
	s_waitcnt lgkmcnt(0)
	v_add_f32_e32 v30, v8, v7
	v_fma_f32 v32, v52, v43, -v32
	v_add_f32_e32 v18, v7, v34
	v_sub_f32_e32 v35, v24, v28
	v_add_f32_e32 v31, v24, v28
	v_sub_f32_e32 v42, v7, v34
	v_add_f32_e32 v44, v23, v24
	v_add_f32_e32 v24, v30, v34
	v_mul_f32_e32 v34, v63, v51
	v_fma_f32 v8, -0.5, v18, v8
	v_add_f32_e32 v18, v9, v32
	v_fmac_f32_e32 v34, v16, v50
	v_mul_f32_e32 v16, v43, v53
	v_fma_f32 v18, -0.5, v18, v36
	v_fmac_f32_e32 v16, v17, v52
	v_fma_f32 v7, -0.5, v31, v23
	v_add_f32_e32 v23, v44, v28
	ds_read_b32 v44, v29
	v_sub_f32_e32 v17, v34, v16
	v_mov_b32_e32 v29, v18
	v_mov_b32_e32 v31, v8
	v_fmac_f32_e32 v29, 0xbf5db3d7, v17
	v_fmac_f32_e32 v18, 0x3f5db3d7, v17
	v_add_f32_e32 v17, v36, v9
	v_fmac_f32_e32 v8, 0x3f5db3d7, v35
	v_fmac_f32_e32 v31, 0xbf5db3d7, v35
	v_add_f32_e32 v35, v17, v32
	v_add_f32_e32 v17, v34, v16
	v_fma_f32 v17, -0.5, v17, v22
	v_sub_f32_e32 v9, v9, v32
	v_mov_b32_e32 v28, v17
	v_fmac_f32_e32 v28, 0x3f5db3d7, v9
	v_fmac_f32_e32 v17, 0xbf5db3d7, v9
	v_add_f32_e32 v9, v22, v34
	v_add_f32_e32 v34, v9, v16
	v_add_u32_e32 v9, v33, v26
	ds_read2_b32 v[26:27], v27 offset0:1 offset1:244
	ds_read_b32 v9, v9
	s_waitcnt vmcnt(2)
	v_mul_f32_e32 v16, v15, v55
	v_fma_f32 v32, v54, v62, -v16
	v_mul_f32_e32 v16, v14, v57
	v_mov_b32_e32 v30, v7
	s_waitcnt lgkmcnt(1)
	v_fma_f32 v36, v56, v27, -v16
	v_fmac_f32_e32 v7, 0xbf5db3d7, v42
	v_fmac_f32_e32 v30, 0x3f5db3d7, v42
	v_add_f32_e32 v16, v32, v36
	v_mul_f32_e32 v42, v62, v55
	v_mul_f32_e32 v27, v27, v57
	s_waitcnt lgkmcnt(0)
	v_fma_f32 v16, -0.5, v16, v9
	v_fmac_f32_e32 v42, v15, v54
	v_fmac_f32_e32 v27, v14, v56
	v_add_f32_e32 v9, v9, v32
	v_add_f32_e32 v22, v9, v36
	;; [unrolled: 1-line block ×3, first 2 shown]
	v_fma_f32 v15, -0.5, v9, v21
	v_sub_f32_e32 v9, v32, v36
	v_mov_b32_e32 v32, v15
	v_sub_f32_e32 v14, v42, v27
	v_fmac_f32_e32 v32, 0x3f5db3d7, v9
	v_fmac_f32_e32 v15, 0xbf5db3d7, v9
	v_add_f32_e32 v9, v21, v42
	ds_read2_b32 v[42:43], v25 offset0:7 offset1:250
	ds_read_b32 v0, v0
	v_mov_b32_e32 v33, v16
	v_fmac_f32_e32 v33, 0xbf5db3d7, v14
	v_fmac_f32_e32 v16, 0x3f5db3d7, v14
	v_add_f32_e32 v21, v9, v27
	s_waitcnt vmcnt(1)
	v_mul_f32_e32 v9, v12, v4
	v_mul_f32_e32 v14, v13, v6
	s_waitcnt lgkmcnt(1)
	v_fma_f32 v9, v3, v43, -v9
	v_fma_f32 v25, v5, v26, -v14
	v_mul_f32_e32 v27, v43, v4
	v_add_f32_e32 v14, v9, v25
	v_fmac_f32_e32 v27, v12, v3
	v_mul_f32_e32 v12, v26, v6
	s_waitcnt lgkmcnt(0)
	v_fma_f32 v14, -0.5, v14, v0
	v_fmac_f32_e32 v12, v13, v5
	v_add_f32_e32 v0, v0, v9
	v_add_f32_e32 v6, v0, v25
	;; [unrolled: 1-line block ×3, first 2 shown]
	v_fma_f32 v13, -0.5, v0, v20
	v_sub_f32_e32 v0, v9, v25
	v_mul_hi_u32 v25, v37, s0
	v_sub_f32_e32 v3, v27, v12
	v_mov_b32_e32 v4, v14
	v_fmac_f32_e32 v4, 0xbf5db3d7, v3
	v_fmac_f32_e32 v14, 0x3f5db3d7, v3
	v_mov_b32_e32 v3, v13
	v_fmac_f32_e32 v3, 0x3f5db3d7, v0
	v_fmac_f32_e32 v13, 0xbf5db3d7, v0
	v_add_f32_e32 v0, v20, v27
	v_add_f32_e32 v5, v0, v12
	s_waitcnt vmcnt(0)
	v_mul_f32_e32 v0, v11, v39
	v_mul_f32_e32 v9, v10, v41
	;; [unrolled: 1-line block ×3, first 2 shown]
	v_lshrrev_b32_e32 v25, 7, v25
	v_fma_f32 v0, v38, v42, -v0
	v_fma_f32 v9, v40, v61, -v9
	v_fmac_f32_e32 v36, v11, v38
	v_mul_f32_e32 v38, v61, v41
	v_mul_u32_u24_e32 v25, 0x4bf, v25
	v_add_f32_e32 v12, v0, v9
	v_fmac_f32_e32 v38, v10, v40
	v_sub_u32_e32 v40, v37, v25
	v_fma_f32 v12, -0.5, v12, v44
	v_mad_u64_u32 v[25:26], s[4:5], s2, v40, 0
	v_sub_f32_e32 v11, v36, v38
	v_mov_b32_e32 v10, v12
	v_fmac_f32_e32 v10, 0xbf5db3d7, v11
	v_fmac_f32_e32 v12, 0x3f5db3d7, v11
	v_add_f32_e32 v11, v44, v0
	v_add_f32_e32 v20, v11, v9
	;; [unrolled: 1-line block ×3, first 2 shown]
	v_fma_f32 v11, -0.5, v11, v19
	v_sub_f32_e32 v39, v0, v9
	v_mov_b32_e32 v0, v26
	v_mov_b32_e32 v9, v11
	v_mad_u64_u32 v[26:27], s[4:5], s3, v40, v[0:1]
	v_add_f32_e32 v0, v19, v36
	v_fmac_f32_e32 v9, 0x3f5db3d7, v39
	v_fmac_f32_e32 v11, 0xbf5db3d7, v39
	v_add_f32_e32 v19, v0, v38
	v_lshlrev_b64 v[38:39], 3, v[58:59]
	v_mov_b32_e32 v0, s11
	v_add_co_u32_e32 v27, vcc, s10, v38
	v_add_u32_e32 v41, 0x4bf, v40
	v_addc_co_u32_e32 v36, vcc, v0, v39, vcc
	v_mad_u64_u32 v[38:39], s[4:5], s2, v41, 0
	v_lshlrev_b64 v[0:1], 3, v[1:2]
	v_add_co_u32_e32 v27, vcc, v27, v0
	v_mov_b32_e32 v2, v39
	v_addc_co_u32_e32 v36, vcc, v36, v1, vcc
	v_lshlrev_b64 v[0:1], 3, v[25:26]
	v_mad_u64_u32 v[25:26], s[4:5], s3, v41, v[2:3]
	v_add_co_u32_e32 v0, vcc, v27, v0
	v_addc_co_u32_e32 v1, vcc, v36, v1, vcc
	v_mov_b32_e32 v39, v25
	v_add_u32_e32 v25, 0x97e, v40
	global_store_dwordx2 v[0:1], v[19:20], off
	v_mad_u64_u32 v[19:20], s[4:5], s2, v25, 0
	v_lshlrev_b64 v[0:1], 3, v[38:39]
	v_mov_b32_e32 v2, v20
	v_mad_u64_u32 v[25:26], s[4:5], s3, v25, v[2:3]
	v_add_u32_e32 v2, 0xf3, v37
	v_mul_hi_u32 v26, v2, s0
	v_add_co_u32_e32 v0, vcc, v27, v0
	v_addc_co_u32_e32 v1, vcc, v36, v1, vcc
	global_store_dwordx2 v[0:1], v[11:12], off
	v_lshrrev_b32_e32 v11, 7, v26
	v_mul_u32_u24_e32 v12, 0x4bf, v11
	v_sub_u32_e32 v2, v2, v12
	v_mad_u32_u24 v38, v11, s6, v2
	v_mad_u64_u32 v[11:12], s[4:5], s2, v38, 0
	v_mov_b32_e32 v20, v25
	v_lshlrev_b64 v[0:1], 3, v[19:20]
	v_mov_b32_e32 v2, v12
	v_mad_u64_u32 v[19:20], s[4:5], s3, v38, v[2:3]
	v_add_u32_e32 v20, 0x4bf, v38
	v_mad_u64_u32 v[25:26], s[4:5], s2, v20, 0
	v_add_co_u32_e32 v0, vcc, v27, v0
	v_addc_co_u32_e32 v1, vcc, v36, v1, vcc
	v_mov_b32_e32 v2, v26
	global_store_dwordx2 v[0:1], v[9:10], off
	v_mov_b32_e32 v12, v19
	v_mad_u64_u32 v[9:10], s[4:5], s3, v20, v[2:3]
	v_lshlrev_b64 v[0:1], 3, v[11:12]
	v_add_co_u32_e32 v0, vcc, v27, v0
	v_addc_co_u32_e32 v1, vcc, v36, v1, vcc
	v_mov_b32_e32 v26, v9
	v_add_u32_e32 v9, 0x97e, v38
	global_store_dwordx2 v[0:1], v[5:6], off
	v_mad_u64_u32 v[5:6], s[4:5], s2, v9, 0
	v_lshlrev_b64 v[0:1], 3, v[25:26]
	v_mov_b32_e32 v2, v6
	v_mad_u64_u32 v[9:10], s[4:5], s3, v9, v[2:3]
	v_add_u32_e32 v2, 0x1e6, v37
	v_mul_hi_u32 v10, v2, s0
	v_add_co_u32_e32 v0, vcc, v27, v0
	v_addc_co_u32_e32 v1, vcc, v36, v1, vcc
	v_mov_b32_e32 v6, v9
	global_store_dwordx2 v[0:1], v[13:14], off
	v_lshlrev_b64 v[0:1], 3, v[5:6]
	v_lshrrev_b32_e32 v5, 7, v10
	v_mul_u32_u24_e32 v6, 0x4bf, v5
	v_sub_u32_e32 v2, v2, v6
	v_mad_u32_u24 v12, v5, s6, v2
	v_mad_u64_u32 v[5:6], s[4:5], s2, v12, 0
	v_add_u32_e32 v13, 0x4bf, v12
	v_add_co_u32_e32 v0, vcc, v27, v0
	v_mov_b32_e32 v2, v6
	v_mad_u64_u32 v[9:10], s[4:5], s3, v12, v[2:3]
	v_mad_u64_u32 v[10:11], s[4:5], s2, v13, 0
	v_addc_co_u32_e32 v1, vcc, v36, v1, vcc
	v_mov_b32_e32 v2, v11
	global_store_dwordx2 v[0:1], v[3:4], off
	v_mad_u64_u32 v[2:3], s[4:5], s3, v13, v[2:3]
	v_add_u32_e32 v4, 0x97e, v12
	v_mov_b32_e32 v6, v9
	v_mov_b32_e32 v11, v2
	v_mad_u64_u32 v[2:3], s[4:5], s2, v4, 0
	v_lshlrev_b64 v[0:1], 3, v[5:6]
	v_add_co_u32_e32 v0, vcc, v27, v0
	v_mad_u64_u32 v[3:4], s[4:5], s3, v4, v[3:4]
	v_addc_co_u32_e32 v1, vcc, v36, v1, vcc
	v_add_u32_e32 v4, 0x2d9, v37
	global_store_dwordx2 v[0:1], v[21:22], off
	v_lshlrev_b64 v[0:1], 3, v[10:11]
	v_mul_hi_u32 v5, v4, s0
	v_add_co_u32_e32 v0, vcc, v27, v0
	v_addc_co_u32_e32 v1, vcc, v36, v1, vcc
	global_store_dwordx2 v[0:1], v[15:16], off
	v_lshlrev_b64 v[0:1], 3, v[2:3]
	v_lshrrev_b32_e32 v2, 7, v5
	v_mul_u32_u24_e32 v3, 0x4bf, v2
	v_sub_u32_e32 v3, v4, v3
	v_mad_u32_u24 v6, v2, s6, v3
	v_mad_u64_u32 v[2:3], s[4:5], s2, v6, 0
	v_add_u32_e32 v9, 0x4bf, v6
	v_add_co_u32_e32 v0, vcc, v27, v0
	v_mad_u64_u32 v[3:4], s[4:5], s3, v6, v[3:4]
	v_mad_u64_u32 v[4:5], s[4:5], s2, v9, 0
	v_addc_co_u32_e32 v1, vcc, v36, v1, vcc
	global_store_dwordx2 v[0:1], v[32:33], off
	v_lshlrev_b64 v[0:1], 3, v[2:3]
	v_mov_b32_e32 v2, v5
	v_mad_u64_u32 v[2:3], s[4:5], s3, v9, v[2:3]
	v_add_co_u32_e32 v0, vcc, v27, v0
	v_addc_co_u32_e32 v1, vcc, v36, v1, vcc
	v_mov_b32_e32 v5, v2
	global_store_dwordx2 v[0:1], v[34:35], off
	v_lshlrev_b64 v[0:1], 3, v[4:5]
	v_add_u32_e32 v4, 0x97e, v6
	v_mad_u64_u32 v[2:3], s[4:5], s2, v4, 0
	v_add_u32_e32 v5, 0x3cc, v37
	v_mul_hi_u32 v6, v5, s0
	v_mad_u64_u32 v[3:4], s[0:1], s3, v4, v[3:4]
	v_add_co_u32_e32 v0, vcc, v27, v0
	v_lshrrev_b32_e32 v4, 7, v6
	v_mul_u32_u24_e32 v6, 0x4bf, v4
	v_sub_u32_e32 v5, v5, v6
	v_mad_u32_u24 v6, v4, s6, v5
	v_mad_u64_u32 v[4:5], s[0:1], s2, v6, 0
	v_addc_co_u32_e32 v1, vcc, v36, v1, vcc
	global_store_dwordx2 v[0:1], v[17:18], off
	v_lshlrev_b64 v[0:1], 3, v[2:3]
	v_mov_b32_e32 v2, v5
	v_mad_u64_u32 v[2:3], s[0:1], s3, v6, v[2:3]
	v_add_co_u32_e32 v0, vcc, v27, v0
	v_addc_co_u32_e32 v1, vcc, v36, v1, vcc
	v_mov_b32_e32 v5, v2
	global_store_dwordx2 v[0:1], v[28:29], off
	v_lshlrev_b64 v[0:1], 3, v[4:5]
	v_add_u32_e32 v4, 0x4bf, v6
	v_mad_u64_u32 v[2:3], s[0:1], s2, v4, 0
	v_add_u32_e32 v6, 0x97e, v6
	v_add_co_u32_e32 v0, vcc, v27, v0
	v_mad_u64_u32 v[3:4], s[0:1], s3, v4, v[3:4]
	v_mad_u64_u32 v[4:5], s[0:1], s2, v6, 0
	v_addc_co_u32_e32 v1, vcc, v36, v1, vcc
	global_store_dwordx2 v[0:1], v[23:24], off
	v_lshlrev_b64 v[0:1], 3, v[2:3]
	v_mov_b32_e32 v2, v5
	v_mad_u64_u32 v[2:3], s[0:1], s3, v6, v[2:3]
	v_add_co_u32_e32 v0, vcc, v27, v0
	v_addc_co_u32_e32 v1, vcc, v36, v1, vcc
	v_mov_b32_e32 v5, v2
	global_store_dwordx2 v[0:1], v[7:8], off
	v_lshlrev_b64 v[0:1], 3, v[4:5]
	v_add_co_u32_e32 v0, vcc, v27, v0
	v_addc_co_u32_e32 v1, vcc, v36, v1, vcc
	global_store_dwordx2 v[0:1], v[30:31], off
.LBB0_15:
	s_endpgm
	.section	.rodata,"a",@progbits
	.p2align	6, 0x0
	.amdhsa_kernel fft_rtc_back_len3645_factors_5_3_3_3_3_3_3_wgs_243_tpt_243_halfLds_sp_op_CI_CI_sbrr_dirReg
		.amdhsa_group_segment_fixed_size 0
		.amdhsa_private_segment_fixed_size 0
		.amdhsa_kernarg_size 104
		.amdhsa_user_sgpr_count 6
		.amdhsa_user_sgpr_private_segment_buffer 1
		.amdhsa_user_sgpr_dispatch_ptr 0
		.amdhsa_user_sgpr_queue_ptr 0
		.amdhsa_user_sgpr_kernarg_segment_ptr 1
		.amdhsa_user_sgpr_dispatch_id 0
		.amdhsa_user_sgpr_flat_scratch_init 0
		.amdhsa_user_sgpr_private_segment_size 0
		.amdhsa_uses_dynamic_stack 0
		.amdhsa_system_sgpr_private_segment_wavefront_offset 0
		.amdhsa_system_sgpr_workgroup_id_x 1
		.amdhsa_system_sgpr_workgroup_id_y 0
		.amdhsa_system_sgpr_workgroup_id_z 0
		.amdhsa_system_sgpr_workgroup_info 0
		.amdhsa_system_vgpr_workitem_id 0
		.amdhsa_next_free_vgpr 75
		.amdhsa_next_free_sgpr 32
		.amdhsa_reserve_vcc 1
		.amdhsa_reserve_flat_scratch 0
		.amdhsa_float_round_mode_32 0
		.amdhsa_float_round_mode_16_64 0
		.amdhsa_float_denorm_mode_32 3
		.amdhsa_float_denorm_mode_16_64 3
		.amdhsa_dx10_clamp 1
		.amdhsa_ieee_mode 1
		.amdhsa_fp16_overflow 0
		.amdhsa_exception_fp_ieee_invalid_op 0
		.amdhsa_exception_fp_denorm_src 0
		.amdhsa_exception_fp_ieee_div_zero 0
		.amdhsa_exception_fp_ieee_overflow 0
		.amdhsa_exception_fp_ieee_underflow 0
		.amdhsa_exception_fp_ieee_inexact 0
		.amdhsa_exception_int_div_zero 0
	.end_amdhsa_kernel
	.text
.Lfunc_end0:
	.size	fft_rtc_back_len3645_factors_5_3_3_3_3_3_3_wgs_243_tpt_243_halfLds_sp_op_CI_CI_sbrr_dirReg, .Lfunc_end0-fft_rtc_back_len3645_factors_5_3_3_3_3_3_3_wgs_243_tpt_243_halfLds_sp_op_CI_CI_sbrr_dirReg
                                        ; -- End function
	.section	.AMDGPU.csdata,"",@progbits
; Kernel info:
; codeLenInByte = 12248
; NumSgprs: 36
; NumVgprs: 75
; ScratchSize: 0
; MemoryBound: 0
; FloatMode: 240
; IeeeMode: 1
; LDSByteSize: 0 bytes/workgroup (compile time only)
; SGPRBlocks: 4
; VGPRBlocks: 18
; NumSGPRsForWavesPerEU: 36
; NumVGPRsForWavesPerEU: 75
; Occupancy: 3
; WaveLimiterHint : 1
; COMPUTE_PGM_RSRC2:SCRATCH_EN: 0
; COMPUTE_PGM_RSRC2:USER_SGPR: 6
; COMPUTE_PGM_RSRC2:TRAP_HANDLER: 0
; COMPUTE_PGM_RSRC2:TGID_X_EN: 1
; COMPUTE_PGM_RSRC2:TGID_Y_EN: 0
; COMPUTE_PGM_RSRC2:TGID_Z_EN: 0
; COMPUTE_PGM_RSRC2:TIDIG_COMP_CNT: 0
	.type	__hip_cuid_a2fcc486e46885bf,@object ; @__hip_cuid_a2fcc486e46885bf
	.section	.bss,"aw",@nobits
	.globl	__hip_cuid_a2fcc486e46885bf
__hip_cuid_a2fcc486e46885bf:
	.byte	0                               ; 0x0
	.size	__hip_cuid_a2fcc486e46885bf, 1

	.ident	"AMD clang version 19.0.0git (https://github.com/RadeonOpenCompute/llvm-project roc-6.4.0 25133 c7fe45cf4b819c5991fe208aaa96edf142730f1d)"
	.section	".note.GNU-stack","",@progbits
	.addrsig
	.addrsig_sym __hip_cuid_a2fcc486e46885bf
	.amdgpu_metadata
---
amdhsa.kernels:
  - .args:
      - .actual_access:  read_only
        .address_space:  global
        .offset:         0
        .size:           8
        .value_kind:     global_buffer
      - .offset:         8
        .size:           8
        .value_kind:     by_value
      - .actual_access:  read_only
        .address_space:  global
        .offset:         16
        .size:           8
        .value_kind:     global_buffer
      - .actual_access:  read_only
        .address_space:  global
        .offset:         24
        .size:           8
        .value_kind:     global_buffer
      - .actual_access:  read_only
        .address_space:  global
        .offset:         32
        .size:           8
        .value_kind:     global_buffer
      - .offset:         40
        .size:           8
        .value_kind:     by_value
      - .actual_access:  read_only
        .address_space:  global
        .offset:         48
        .size:           8
        .value_kind:     global_buffer
      - .actual_access:  read_only
        .address_space:  global
        .offset:         56
        .size:           8
        .value_kind:     global_buffer
      - .offset:         64
        .size:           4
        .value_kind:     by_value
      - .actual_access:  read_only
        .address_space:  global
        .offset:         72
        .size:           8
        .value_kind:     global_buffer
      - .actual_access:  read_only
        .address_space:  global
        .offset:         80
        .size:           8
        .value_kind:     global_buffer
      - .actual_access:  read_only
        .address_space:  global
        .offset:         88
        .size:           8
        .value_kind:     global_buffer
      - .actual_access:  write_only
        .address_space:  global
        .offset:         96
        .size:           8
        .value_kind:     global_buffer
    .group_segment_fixed_size: 0
    .kernarg_segment_align: 8
    .kernarg_segment_size: 104
    .language:       OpenCL C
    .language_version:
      - 2
      - 0
    .max_flat_workgroup_size: 243
    .name:           fft_rtc_back_len3645_factors_5_3_3_3_3_3_3_wgs_243_tpt_243_halfLds_sp_op_CI_CI_sbrr_dirReg
    .private_segment_fixed_size: 0
    .sgpr_count:     36
    .sgpr_spill_count: 0
    .symbol:         fft_rtc_back_len3645_factors_5_3_3_3_3_3_3_wgs_243_tpt_243_halfLds_sp_op_CI_CI_sbrr_dirReg.kd
    .uniform_work_group_size: 1
    .uses_dynamic_stack: false
    .vgpr_count:     75
    .vgpr_spill_count: 0
    .wavefront_size: 64
amdhsa.target:   amdgcn-amd-amdhsa--gfx906
amdhsa.version:
  - 1
  - 2
...

	.end_amdgpu_metadata
